;; amdgpu-corpus repo=ROCm/rocFFT kind=compiled arch=gfx906 opt=O3
	.text
	.amdgcn_target "amdgcn-amd-amdhsa--gfx906"
	.amdhsa_code_object_version 6
	.protected	fft_rtc_fwd_len2160_factors_10_6_6_6_wgs_60_tpt_60_halfLds_sp_ip_CI_unitstride_sbrr_R2C_dirReg ; -- Begin function fft_rtc_fwd_len2160_factors_10_6_6_6_wgs_60_tpt_60_halfLds_sp_ip_CI_unitstride_sbrr_R2C_dirReg
	.globl	fft_rtc_fwd_len2160_factors_10_6_6_6_wgs_60_tpt_60_halfLds_sp_ip_CI_unitstride_sbrr_R2C_dirReg
	.p2align	8
	.type	fft_rtc_fwd_len2160_factors_10_6_6_6_wgs_60_tpt_60_halfLds_sp_ip_CI_unitstride_sbrr_R2C_dirReg,@function
fft_rtc_fwd_len2160_factors_10_6_6_6_wgs_60_tpt_60_halfLds_sp_ip_CI_unitstride_sbrr_R2C_dirReg: ; @fft_rtc_fwd_len2160_factors_10_6_6_6_wgs_60_tpt_60_halfLds_sp_ip_CI_unitstride_sbrr_R2C_dirReg
; %bb.0:
	s_load_dwordx2 s[2:3], s[4:5], 0x50
	s_load_dwordx4 s[8:11], s[4:5], 0x0
	s_load_dwordx2 s[12:13], s[4:5], 0x18
	v_mul_u32_u24_e32 v1, 0x445, v0
	v_add_u32_sdwa v5, s6, v1 dst_sel:DWORD dst_unused:UNUSED_PAD src0_sel:DWORD src1_sel:WORD_1
	v_mov_b32_e32 v3, 0
	s_waitcnt lgkmcnt(0)
	v_cmp_lt_u64_e64 s[0:1], s[10:11], 2
	v_mov_b32_e32 v1, 0
	v_mov_b32_e32 v6, v3
	s_and_b64 vcc, exec, s[0:1]
	v_mov_b32_e32 v2, 0
	s_cbranch_vccnz .LBB0_8
; %bb.1:
	s_load_dwordx2 s[0:1], s[4:5], 0x10
	s_add_u32 s6, s12, 8
	s_addc_u32 s7, s13, 0
	v_mov_b32_e32 v1, 0
	v_mov_b32_e32 v2, 0
	s_waitcnt lgkmcnt(0)
	s_add_u32 s14, s0, 8
	s_addc_u32 s15, s1, 0
	s_mov_b64 s[16:17], 1
.LBB0_2:                                ; =>This Inner Loop Header: Depth=1
	s_load_dwordx2 s[18:19], s[14:15], 0x0
                                        ; implicit-def: $vgpr7_vgpr8
	s_waitcnt lgkmcnt(0)
	v_or_b32_e32 v4, s19, v6
	v_cmp_ne_u64_e32 vcc, 0, v[3:4]
	s_and_saveexec_b64 s[0:1], vcc
	s_xor_b64 s[20:21], exec, s[0:1]
	s_cbranch_execz .LBB0_4
; %bb.3:                                ;   in Loop: Header=BB0_2 Depth=1
	v_cvt_f32_u32_e32 v4, s18
	v_cvt_f32_u32_e32 v7, s19
	s_sub_u32 s0, 0, s18
	s_subb_u32 s1, 0, s19
	v_mac_f32_e32 v4, 0x4f800000, v7
	v_rcp_f32_e32 v4, v4
	v_mul_f32_e32 v4, 0x5f7ffffc, v4
	v_mul_f32_e32 v7, 0x2f800000, v4
	v_trunc_f32_e32 v7, v7
	v_mac_f32_e32 v4, 0xcf800000, v7
	v_cvt_u32_f32_e32 v7, v7
	v_cvt_u32_f32_e32 v4, v4
	v_mul_lo_u32 v8, s0, v7
	v_mul_hi_u32 v9, s0, v4
	v_mul_lo_u32 v11, s1, v4
	v_mul_lo_u32 v10, s0, v4
	v_add_u32_e32 v8, v9, v8
	v_add_u32_e32 v8, v8, v11
	v_mul_hi_u32 v9, v4, v10
	v_mul_lo_u32 v11, v4, v8
	v_mul_hi_u32 v13, v4, v8
	v_mul_hi_u32 v12, v7, v10
	v_mul_lo_u32 v10, v7, v10
	v_mul_hi_u32 v14, v7, v8
	v_add_co_u32_e32 v9, vcc, v9, v11
	v_addc_co_u32_e32 v11, vcc, 0, v13, vcc
	v_mul_lo_u32 v8, v7, v8
	v_add_co_u32_e32 v9, vcc, v9, v10
	v_addc_co_u32_e32 v9, vcc, v11, v12, vcc
	v_addc_co_u32_e32 v10, vcc, 0, v14, vcc
	v_add_co_u32_e32 v8, vcc, v9, v8
	v_addc_co_u32_e32 v9, vcc, 0, v10, vcc
	v_add_co_u32_e32 v4, vcc, v4, v8
	v_addc_co_u32_e32 v7, vcc, v7, v9, vcc
	v_mul_lo_u32 v8, s0, v7
	v_mul_hi_u32 v9, s0, v4
	v_mul_lo_u32 v10, s1, v4
	v_mul_lo_u32 v11, s0, v4
	v_add_u32_e32 v8, v9, v8
	v_add_u32_e32 v8, v8, v10
	v_mul_lo_u32 v12, v4, v8
	v_mul_hi_u32 v13, v4, v11
	v_mul_hi_u32 v14, v4, v8
	;; [unrolled: 1-line block ×3, first 2 shown]
	v_mul_lo_u32 v11, v7, v11
	v_mul_hi_u32 v9, v7, v8
	v_add_co_u32_e32 v12, vcc, v13, v12
	v_addc_co_u32_e32 v13, vcc, 0, v14, vcc
	v_mul_lo_u32 v8, v7, v8
	v_add_co_u32_e32 v11, vcc, v12, v11
	v_addc_co_u32_e32 v10, vcc, v13, v10, vcc
	v_addc_co_u32_e32 v9, vcc, 0, v9, vcc
	v_add_co_u32_e32 v8, vcc, v10, v8
	v_addc_co_u32_e32 v9, vcc, 0, v9, vcc
	v_add_co_u32_e32 v4, vcc, v4, v8
	v_addc_co_u32_e32 v9, vcc, v7, v9, vcc
	v_mad_u64_u32 v[7:8], s[0:1], v5, v9, 0
	v_mul_hi_u32 v10, v5, v4
	v_add_co_u32_e32 v11, vcc, v10, v7
	v_addc_co_u32_e32 v12, vcc, 0, v8, vcc
	v_mad_u64_u32 v[7:8], s[0:1], v6, v4, 0
	v_mad_u64_u32 v[9:10], s[0:1], v6, v9, 0
	v_add_co_u32_e32 v4, vcc, v11, v7
	v_addc_co_u32_e32 v4, vcc, v12, v8, vcc
	v_addc_co_u32_e32 v7, vcc, 0, v10, vcc
	v_add_co_u32_e32 v4, vcc, v4, v9
	v_addc_co_u32_e32 v9, vcc, 0, v7, vcc
	v_mul_lo_u32 v10, s19, v4
	v_mul_lo_u32 v11, s18, v9
	v_mad_u64_u32 v[7:8], s[0:1], s18, v4, 0
	v_add3_u32 v8, v8, v11, v10
	v_sub_u32_e32 v10, v6, v8
	v_mov_b32_e32 v11, s19
	v_sub_co_u32_e32 v7, vcc, v5, v7
	v_subb_co_u32_e64 v10, s[0:1], v10, v11, vcc
	v_subrev_co_u32_e64 v11, s[0:1], s18, v7
	v_subbrev_co_u32_e64 v10, s[0:1], 0, v10, s[0:1]
	v_cmp_le_u32_e64 s[0:1], s19, v10
	v_cndmask_b32_e64 v12, 0, -1, s[0:1]
	v_cmp_le_u32_e64 s[0:1], s18, v11
	v_cndmask_b32_e64 v11, 0, -1, s[0:1]
	v_cmp_eq_u32_e64 s[0:1], s19, v10
	v_cndmask_b32_e64 v10, v12, v11, s[0:1]
	v_add_co_u32_e64 v11, s[0:1], 2, v4
	v_addc_co_u32_e64 v12, s[0:1], 0, v9, s[0:1]
	v_add_co_u32_e64 v13, s[0:1], 1, v4
	v_addc_co_u32_e64 v14, s[0:1], 0, v9, s[0:1]
	v_subb_co_u32_e32 v8, vcc, v6, v8, vcc
	v_cmp_ne_u32_e64 s[0:1], 0, v10
	v_cmp_le_u32_e32 vcc, s19, v8
	v_cndmask_b32_e64 v10, v14, v12, s[0:1]
	v_cndmask_b32_e64 v12, 0, -1, vcc
	v_cmp_le_u32_e32 vcc, s18, v7
	v_cndmask_b32_e64 v7, 0, -1, vcc
	v_cmp_eq_u32_e32 vcc, s19, v8
	v_cndmask_b32_e32 v7, v12, v7, vcc
	v_cmp_ne_u32_e32 vcc, 0, v7
	v_cndmask_b32_e64 v7, v13, v11, s[0:1]
	v_cndmask_b32_e32 v8, v9, v10, vcc
	v_cndmask_b32_e32 v7, v4, v7, vcc
.LBB0_4:                                ;   in Loop: Header=BB0_2 Depth=1
	s_andn2_saveexec_b64 s[0:1], s[20:21]
	s_cbranch_execz .LBB0_6
; %bb.5:                                ;   in Loop: Header=BB0_2 Depth=1
	v_cvt_f32_u32_e32 v4, s18
	s_sub_i32 s20, 0, s18
	v_rcp_iflag_f32_e32 v4, v4
	v_mul_f32_e32 v4, 0x4f7ffffe, v4
	v_cvt_u32_f32_e32 v4, v4
	v_mul_lo_u32 v7, s20, v4
	v_mul_hi_u32 v7, v4, v7
	v_add_u32_e32 v4, v4, v7
	v_mul_hi_u32 v4, v5, v4
	v_mul_lo_u32 v7, v4, s18
	v_add_u32_e32 v8, 1, v4
	v_sub_u32_e32 v7, v5, v7
	v_subrev_u32_e32 v9, s18, v7
	v_cmp_le_u32_e32 vcc, s18, v7
	v_cndmask_b32_e32 v7, v7, v9, vcc
	v_cndmask_b32_e32 v4, v4, v8, vcc
	v_add_u32_e32 v8, 1, v4
	v_cmp_le_u32_e32 vcc, s18, v7
	v_cndmask_b32_e32 v7, v4, v8, vcc
	v_mov_b32_e32 v8, v3
.LBB0_6:                                ;   in Loop: Header=BB0_2 Depth=1
	s_or_b64 exec, exec, s[0:1]
	v_mul_lo_u32 v4, v8, s18
	v_mul_lo_u32 v11, v7, s19
	v_mad_u64_u32 v[9:10], s[0:1], v7, s18, 0
	s_load_dwordx2 s[0:1], s[6:7], 0x0
	s_add_u32 s16, s16, 1
	v_add3_u32 v4, v10, v11, v4
	v_sub_co_u32_e32 v5, vcc, v5, v9
	v_subb_co_u32_e32 v4, vcc, v6, v4, vcc
	s_waitcnt lgkmcnt(0)
	v_mul_lo_u32 v4, s0, v4
	v_mul_lo_u32 v6, s1, v5
	v_mad_u64_u32 v[1:2], s[0:1], s0, v5, v[1:2]
	s_addc_u32 s17, s17, 0
	s_add_u32 s6, s6, 8
	v_add3_u32 v2, v6, v2, v4
	v_mov_b32_e32 v4, s10
	v_mov_b32_e32 v5, s11
	s_addc_u32 s7, s7, 0
	v_cmp_ge_u64_e32 vcc, s[16:17], v[4:5]
	s_add_u32 s14, s14, 8
	s_addc_u32 s15, s15, 0
	s_cbranch_vccnz .LBB0_9
; %bb.7:                                ;   in Loop: Header=BB0_2 Depth=1
	v_mov_b32_e32 v5, v7
	v_mov_b32_e32 v6, v8
	s_branch .LBB0_2
.LBB0_8:
	v_mov_b32_e32 v8, v6
	v_mov_b32_e32 v7, v5
.LBB0_9:
	s_lshl_b64 s[0:1], s[10:11], 3
	s_add_u32 s0, s12, s0
	s_addc_u32 s1, s13, s1
	s_load_dwordx2 s[6:7], s[0:1], 0x0
	s_load_dwordx2 s[10:11], s[4:5], 0x20
                                        ; implicit-def: $vgpr87
                                        ; implicit-def: $vgpr86
	s_waitcnt lgkmcnt(0)
	v_mad_u64_u32 v[1:2], s[0:1], s6, v7, v[1:2]
	s_mov_b32 s0, 0x4444445
	v_mul_lo_u32 v3, s6, v8
	v_mul_lo_u32 v4, s7, v7
	v_mul_hi_u32 v5, v0, s0
	v_cmp_gt_u64_e64 s[0:1], s[10:11], v[7:8]
	v_cmp_le_u64_e32 vcc, s[10:11], v[7:8]
	v_add3_u32 v2, v4, v2, v3
	v_mul_u32_u24_e32 v3, 60, v5
	v_sub_u32_e32 v80, v0, v3
	v_add_u32_e32 v82, 60, v80
	s_and_saveexec_b64 s[4:5], vcc
	s_xor_b64 s[4:5], exec, s[4:5]
; %bb.10:
	v_add_u32_e32 v82, 60, v80
	v_add_u32_e32 v87, 0x78, v80
	;; [unrolled: 1-line block ×3, first 2 shown]
; %bb.11:
	s_or_saveexec_b64 s[4:5], s[4:5]
	v_lshlrev_b64 v[84:85], 3, v[1:2]
	v_lshl_add_u32 v89, v80, 3, 0
	s_xor_b64 exec, exec, s[4:5]
	s_cbranch_execz .LBB0_13
; %bb.12:
	v_mov_b32_e32 v81, 0
	v_mov_b32_e32 v0, s3
	v_add_co_u32_e32 v70, vcc, s2, v84
	v_addc_co_u32_e32 v71, vcc, v0, v85, vcc
	v_lshlrev_b64 v[0:1], 3, v[80:81]
	s_movk_i32 s6, 0x1000
	v_add_co_u32_e32 v0, vcc, v70, v0
	v_addc_co_u32_e32 v1, vcc, v71, v1, vcc
	v_or_b32_e32 v36, 0x3c0, v80
	v_mov_b32_e32 v37, v81
	v_add_co_u32_e32 v10, vcc, s6, v0
	v_lshlrev_b64 v[36:37], 3, v[36:37]
	v_addc_co_u32_e32 v11, vcc, 0, v1, vcc
	v_add_co_u32_e32 v36, vcc, v70, v36
	s_movk_i32 s6, 0x2000
	v_addc_co_u32_e32 v37, vcc, v71, v37, vcc
	global_load_dwordx2 v[2:3], v[0:1], off offset:1920
	global_load_dwordx2 v[4:5], v[0:1], off offset:2400
	;; [unrolled: 1-line block ×4, first 2 shown]
	v_add_co_u32_e32 v38, vcc, s6, v0
	v_addc_co_u32_e32 v39, vcc, 0, v1, vcc
	s_movk_i32 s6, 0x3000
	global_load_dwordx2 v[12:13], v[0:1], off offset:3840
	global_load_dwordx2 v[14:15], v[10:11], off offset:224
	;; [unrolled: 1-line block ×8, first 2 shown]
	global_load_dwordx2 v[28:29], v[0:1], off
	global_load_dwordx2 v[30:31], v[0:1], off offset:480
	global_load_dwordx2 v[32:33], v[0:1], off offset:960
	;; [unrolled: 1-line block ×5, first 2 shown]
	global_load_dwordx2 v[44:45], v[36:37], off
	global_load_dwordx2 v[46:47], v[10:11], off offset:4064
	global_load_dwordx2 v[48:49], v[38:39], off offset:1408
	;; [unrolled: 1-line block ×5, first 2 shown]
	v_add_co_u32_e32 v10, vcc, s6, v0
	v_addc_co_u32_e32 v11, vcc, 0, v1, vcc
	global_load_dwordx2 v[36:37], v[38:39], off offset:3328
	global_load_dwordx2 v[56:57], v[38:39], off offset:3808
	;; [unrolled: 1-line block ×8, first 2 shown]
	v_or_b32_e32 v38, 0x780, v80
	v_mov_b32_e32 v39, v81
	v_lshlrev_b64 v[38:39], 3, v[38:39]
	v_add_u32_e32 v87, 0x78, v80
	v_add_co_u32_e32 v38, vcc, v70, v38
	v_addc_co_u32_e32 v39, vcc, v71, v39, vcc
	global_load_dwordx2 v[70:71], v[10:11], off offset:3552
	v_add_co_u32_e32 v0, vcc, 0x4000, v0
	v_addc_co_u32_e32 v1, vcc, 0, v1, vcc
	global_load_dwordx2 v[72:73], v[38:39], off
	global_load_dwordx2 v[74:75], v[0:1], off offset:416
	global_load_dwordx2 v[76:77], v[10:11], off offset:4032
	v_add_u32_e32 v0, 0x400, v89
	v_add_u32_e32 v1, 0x800, v89
	;; [unrolled: 1-line block ×3, first 2 shown]
	s_waitcnt vmcnt(34)
	ds_write2_b64 v0, v[2:3], v[4:5] offset0:112 offset1:172
	s_waitcnt vmcnt(32)
	ds_write2_b64 v1, v[6:7], v[8:9] offset0:104 offset1:164
	v_add_u32_e32 v0, 0xc00, v89
	s_waitcnt vmcnt(30)
	ds_write2_b64 v0, v[12:13], v[14:15] offset0:96 offset1:156
	v_add_u32_e32 v0, 0x1000, v89
	;; [unrolled: 3-line block ×3, first 2 shown]
	s_waitcnt vmcnt(26)
	ds_write2_b64 v0, v[20:21], v[22:23] offset0:80 offset1:140
	s_waitcnt vmcnt(22)
	ds_write2_b64 v89, v[28:29], v[30:31] offset1:60
	v_add_u32_e32 v0, 0x1800, v89
	s_waitcnt vmcnt(20)
	ds_write2_b64 v89, v[32:33], v[34:35] offset0:120 offset1:180
	ds_write2_b64 v0, v[24:25], v[26:27] offset0:72 offset1:132
	s_waitcnt vmcnt(16)
	ds_write2_b64 v0, v[44:45], v[46:47] offset0:192 offset1:252
	v_add_u32_e32 v0, 0x2000, v89
	ds_write2_b64 v0, v[42:43], v[40:41] offset0:56 offset1:116
	s_waitcnt vmcnt(14)
	ds_write2_b64 v0, v[48:49], v[50:51] offset0:176 offset1:236
	v_add_u32_e32 v0, 0x2800, v89
	s_waitcnt vmcnt(12)
	ds_write2_b64 v0, v[52:53], v[54:55] offset0:40 offset1:100
	s_waitcnt vmcnt(10)
	ds_write2_b64 v0, v[36:37], v[56:57] offset0:160 offset1:220
	v_add_u32_e32 v0, 0x3000, v89
	s_waitcnt vmcnt(8)
	;; [unrolled: 5-line block ×4, first 2 shown]
	ds_write2_b64 v0, v[76:77], v[74:75] offset0:120 offset1:180
.LBB0_13:
	s_or_b64 exec, exec, s[4:5]
	v_add_u32_e32 v93, 0x800, v89
	v_add_u32_e32 v81, 0x1800, v89
	;; [unrolled: 1-line block ×3, first 2 shown]
	s_waitcnt lgkmcnt(0)
	; wave barrier
	s_waitcnt lgkmcnt(0)
	ds_read2_b64 v[40:43], v93 offset0:176 offset1:236
	ds_read2_b64 v[44:47], v81 offset0:96 offset1:156
	v_add_u32_e32 v88, 0x3000, v89
	ds_read2_b64 v[52:55], v83 offset0:16 offset1:76
	ds_read2_b64 v[48:51], v88 offset0:192 offset1:252
	v_add_u32_e32 v90, 0x1000, v89
	v_add_u32_e32 v94, 0x2000, v89
	;; [unrolled: 1-line block ×4, first 2 shown]
	ds_read2_b64 v[56:59], v90 offset0:136 offset1:196
	ds_read2_b64 v[60:63], v94 offset0:56 offset1:116
	;; [unrolled: 1-line block ×4, first 2 shown]
	v_add_u32_e32 v91, 0x400, v89
	s_waitcnt lgkmcnt(6)
	v_sub_f32_e32 v0, v40, v44
	s_waitcnt lgkmcnt(4)
	v_sub_f32_e32 v1, v48, v52
	ds_read2_b64 v[68:71], v91 offset0:88 offset1:148
	v_add_f32_e32 v97, v0, v1
	v_sub_f32_e32 v0, v41, v45
	v_sub_f32_e32 v1, v49, v53
	v_add_f32_e32 v98, v0, v1
	s_waitcnt lgkmcnt(3)
	v_sub_f32_e32 v0, v56, v60
	s_waitcnt lgkmcnt(1)
	v_sub_f32_e32 v1, v72, v76
	v_add_f32_e32 v99, v0, v1
	v_sub_f32_e32 v0, v57, v61
	v_sub_f32_e32 v1, v73, v77
	v_add_f32_e32 v101, v0, v1
	v_add_f32_e32 v0, v60, v76
	s_waitcnt lgkmcnt(0)
	v_fma_f32 v100, -0.5, v0, v68
	ds_read2_b64 v[64:67], v89 offset1:60
	v_sub_f32_e32 v103, v57, v73
	v_mov_b32_e32 v0, v100
	v_fmac_f32_e32 v0, 0x3f737871, v103
	v_sub_f32_e32 v104, v61, v77
	v_fmac_f32_e32 v0, 0x3f167918, v104
	v_fmac_f32_e32 v0, 0x3e9e377a, v99
	v_mul_f32_e32 v108, 0x3f4f1bbd, v0
	v_mul_f32_e32 v109, 0xbf167918, v0
	s_waitcnt lgkmcnt(0)
	v_add_f32_e32 v0, v64, v40
	v_add_f32_e32 v0, v0, v44
	;; [unrolled: 1-line block ×5, first 2 shown]
	v_sub_f32_e32 v116, v40, v48
	v_sub_f32_e32 v118, v44, v52
	;; [unrolled: 1-line block ×3, first 2 shown]
	v_add_f32_e32 v40, v40, v48
	v_sub_f32_e32 v52, v52, v48
	v_fma_f32 v48, -0.5, v40, v64
	v_fma_f32 v107, -0.5, v0, v64
	v_sub_f32_e32 v115, v45, v53
	v_add_f32_e32 v0, v65, v41
	v_add_f32_e32 v44, v44, v52
	v_mov_b32_e32 v52, v48
	v_sub_f32_e32 v114, v41, v49
	v_add_f32_e32 v0, v0, v45
	v_fmac_f32_e32 v52, 0xbf737871, v115
	v_fmac_f32_e32 v48, 0x3f737871, v115
	v_add_f32_e32 v0, v0, v53
	v_fmac_f32_e32 v52, 0x3f167918, v114
	v_fmac_f32_e32 v48, 0xbf167918, v114
	v_sub_f32_e32 v40, v45, v41
	v_add_f32_e32 v41, v41, v49
	v_add_f32_e32 v117, v0, v49
	v_fmac_f32_e32 v52, 0x3e9e377a, v44
	v_fmac_f32_e32 v48, 0x3e9e377a, v44
	v_sub_f32_e32 v44, v53, v49
	v_fma_f32 v49, -0.5, v41, v65
	v_add_f32_e32 v0, v45, v53
	v_mov_b32_e32 v53, v49
	v_fmac_f32_e32 v53, 0x3f737871, v118
	v_fmac_f32_e32 v49, 0xbf737871, v118
	v_add_f32_e32 v40, v40, v44
	v_fmac_f32_e32 v53, 0xbf167918, v116
	v_fmac_f32_e32 v49, 0x3f167918, v116
	;; [unrolled: 1-line block ×4, first 2 shown]
	v_sub_f32_e32 v40, v60, v56
	v_sub_f32_e32 v41, v76, v72
	v_add_f32_e32 v40, v40, v41
	v_add_f32_e32 v41, v56, v72
	v_fma_f32 v41, -0.5, v41, v68
	v_mov_b32_e32 v44, v41
	v_fmac_f32_e32 v44, 0xbf737871, v104
	v_fmac_f32_e32 v41, 0x3f737871, v104
	;; [unrolled: 1-line block ×6, first 2 shown]
	v_sub_f32_e32 v40, v61, v57
	v_sub_f32_e32 v45, v77, v73
	v_add_f32_e32 v40, v40, v45
	v_add_f32_e32 v45, v57, v73
	v_fma_f32 v45, -0.5, v45, v69
	v_sub_f32_e32 v105, v56, v72
	v_sub_f32_e32 v106, v60, v76
	v_fma_f32 v110, -0.5, v0, v65
	v_add_f32_e32 v0, v68, v56
	v_mov_b32_e32 v56, v45
	v_add_f32_e32 v1, v61, v77
	v_add_f32_e32 v0, v0, v60
	v_fmac_f32_e32 v56, 0x3f737871, v106
	v_fmac_f32_e32 v45, 0xbf737871, v106
	v_fma_f32 v102, -0.5, v1, v69
	v_add_f32_e32 v0, v0, v76
	v_fmac_f32_e32 v56, 0xbf167918, v105
	v_fmac_f32_e32 v45, 0x3f167918, v105
	v_mov_b32_e32 v1, v102
	v_add_f32_e32 v119, v0, v72
	v_add_f32_e32 v0, v69, v57
	v_fmac_f32_e32 v56, 0x3e9e377a, v40
	v_fmac_f32_e32 v45, 0x3e9e377a, v40
	v_mul_f32_e32 v60, 0xbf737871, v44
	s_mov_b32 s7, 0x3f737871
	v_mul_f32_e32 v40, 0x3e9e377a, v41
	v_fmac_f32_e32 v1, 0xbf737871, v105
	v_add_f32_e32 v0, v0, v61
	v_mul_f32_e32 v57, 0x3f737871, v56
	v_fmac_f32_e32 v60, 0x3e9e377a, v56
	s_mov_b32 s11, 0xbf737871
	v_fma_f32 v56, v45, s7, -v40
	v_mul_f32_e32 v40, 0x3e9e377a, v45
	v_fmac_f32_e32 v100, 0xbf737871, v103
	v_fmac_f32_e32 v1, 0xbf167918, v106
	v_add_f32_e32 v0, v0, v77
	v_mul_u32_u24_e32 v125, 10, v80
	v_fmac_f32_e32 v57, 0x3e9e377a, v44
	v_fma_f32 v61, v41, s11, -v40
	v_fmac_f32_e32 v100, 0xbf167918, v104
	v_fmac_f32_e32 v102, 0x3f737871, v105
	;; [unrolled: 1-line block ×3, first 2 shown]
	v_add_f32_e32 v120, v0, v73
	v_add_u32_e32 v0, 0x4000, v89
	v_lshl_add_u32 v125, v125, 3, 0
	v_add_f32_e32 v40, v52, v57
	v_add_f32_e32 v41, v53, v60
	;; [unrolled: 1-line block ×4, first 2 shown]
	v_fmac_f32_e32 v100, 0x3e9e377a, v99
	v_fmac_f32_e32 v102, 0x3f167918, v106
	;; [unrolled: 1-line block ×4, first 2 shown]
	v_mov_b32_e32 v111, v107
	v_mov_b32_e32 v112, v110
	v_add_u32_e32 v96, 0x1c00, v89
	ds_read2_b64 v[0:3], v0 offset0:16 offset1:76
	ds_read2_b64 v[12:15], v89 offset0:120 offset1:180
	;; [unrolled: 1-line block ×4, first 2 shown]
	ds_read2_b64 v[8:11], v81 offset1:60
	ds_read2_b64 v[28:31], v96 offset0:88 offset1:148
	ds_read2_b64 v[16:19], v94 offset0:176 offset1:236
	;; [unrolled: 1-line block ×5, first 2 shown]
	s_waitcnt lgkmcnt(0)
	; wave barrier
	s_waitcnt lgkmcnt(0)
	ds_write2_b64 v125, v[40:41], v[44:45] offset0:2 offset1:3
	v_fmac_f32_e32 v107, 0xbf737871, v114
	v_fmac_f32_e32 v110, 0x3f737871, v116
	;; [unrolled: 1-line block ×3, first 2 shown]
	s_mov_b32 s10, 0x3f167918
	v_mul_f32_e32 v44, 0x3f4f1bbd, v100
	v_fmac_f32_e32 v111, 0x3f737871, v114
	v_fmac_f32_e32 v112, 0xbf737871, v116
	;; [unrolled: 1-line block ×4, first 2 shown]
	s_mov_b32 s12, 0xbf167918
	v_fma_f32 v64, v102, s10, -v44
	v_mul_f32_e32 v44, 0x3f4f1bbd, v102
	v_fmac_f32_e32 v111, 0x3f167918, v115
	v_fmac_f32_e32 v112, 0xbf167918, v118
	;; [unrolled: 1-line block ×4, first 2 shown]
	v_fma_f32 v65, v100, s12, -v44
	v_fmac_f32_e32 v111, 0x3e9e377a, v97
	v_fmac_f32_e32 v112, 0x3e9e377a, v98
	v_sub_f32_e32 v40, v113, v119
	v_sub_f32_e32 v41, v117, v120
	v_add_f32_e32 v44, v107, v64
	v_add_f32_e32 v45, v110, v65
	ds_write2_b64 v125, v[44:45], v[40:41] offset0:4 offset1:5
	v_sub_f32_e32 v40, v111, v108
	v_sub_f32_e32 v41, v112, v109
	;; [unrolled: 1-line block ×4, first 2 shown]
	ds_write2_b64 v125, v[40:41], v[44:45] offset0:6 offset1:7
	v_sub_f32_e32 v40, v48, v56
	v_sub_f32_e32 v41, v49, v61
	;; [unrolled: 1-line block ×4, first 2 shown]
	ds_write2_b64 v125, v[40:41], v[44:45] offset0:8 offset1:9
	v_add_f32_e32 v40, v66, v42
	v_add_f32_e32 v40, v40, v46
	;; [unrolled: 1-line block ×6, first 2 shown]
	v_sub_f32_e32 v48, v42, v46
	v_sub_f32_e32 v49, v46, v42
	;; [unrolled: 1-line block ×3, first 2 shown]
	v_add_f32_e32 v57, v42, v50
	v_sub_f32_e32 v60, v42, v50
	v_add_f32_e32 v41, v41, v55
	v_sub_f32_e32 v42, v50, v54
	v_sub_f32_e32 v54, v54, v50
	v_add_f32_e32 v50, v40, v50
	v_add_f32_e32 v40, v70, v58
	v_sub_f32_e32 v45, v47, v55
	v_add_f32_e32 v52, v47, v55
	v_sub_f32_e32 v53, v43, v47
	v_sub_f32_e32 v47, v47, v43
	;; [unrolled: 1-line block ×3, first 2 shown]
	v_add_f32_e32 v61, v43, v51
	v_sub_f32_e32 v43, v51, v55
	v_sub_f32_e32 v55, v55, v51
	v_add_f32_e32 v51, v41, v51
	v_add_f32_e32 v40, v40, v62
	;; [unrolled: 1-line block ×7, first 2 shown]
	v_fma_f32 v64, -0.5, v64, v70
	v_sub_f32_e32 v68, v58, v62
	v_sub_f32_e32 v69, v62, v58
	;; [unrolled: 1-line block ×4, first 2 shown]
	v_add_f32_e32 v77, v58, v74
	v_sub_f32_e32 v58, v58, v74
	v_add_f32_e32 v41, v41, v79
	v_sub_f32_e32 v97, v74, v78
	v_sub_f32_e32 v78, v78, v74
	v_add_f32_e32 v74, v40, v74
	v_mov_b32_e32 v40, v64
	v_fma_f32 v72, -0.5, v72, v71
	v_sub_f32_e32 v65, v63, v79
	v_sub_f32_e32 v73, v59, v63
	;; [unrolled: 1-line block ×3, first 2 shown]
	v_add_f32_e32 v59, v59, v75
	v_sub_f32_e32 v98, v75, v79
	v_sub_f32_e32 v79, v79, v75
	v_add_f32_e32 v75, v41, v75
	v_fmac_f32_e32 v40, 0x3f737871, v76
	v_mov_b32_e32 v41, v72
	v_fma_f32 v44, -0.5, v44, v66
	v_fma_f32 v52, -0.5, v52, v67
	v_add_f32_e32 v68, v68, v97
	v_fmac_f32_e32 v40, 0x3f167918, v65
	v_fmac_f32_e32 v41, 0xbf737871, v58
	v_mov_b32_e32 v99, v44
	v_mov_b32_e32 v100, v52
	v_add_f32_e32 v73, v73, v98
	v_fmac_f32_e32 v40, 0x3e9e377a, v68
	v_fmac_f32_e32 v41, 0xbf167918, v62
	;; [unrolled: 1-line block ×4, first 2 shown]
	v_add_f32_e32 v48, v48, v42
	v_add_f32_e32 v53, v53, v43
	v_fmac_f32_e32 v41, 0x3e9e377a, v73
	v_mul_f32_e32 v97, 0x3f4f1bbd, v40
	v_mul_f32_e32 v98, 0xbf167918, v40
	v_fmac_f32_e32 v99, 0x3f167918, v45
	v_fmac_f32_e32 v100, 0xbf167918, v46
	;; [unrolled: 1-line block ×6, first 2 shown]
	v_mul_i32_i24_e32 v101, 10, v82
	v_add_f32_e32 v49, v49, v54
	v_fma_f32 v54, -0.5, v57, v66
	v_add_f32_e32 v121, v113, v119
	v_add_f32_e32 v122, v117, v120
	;; [unrolled: 1-line block ×8, first 2 shown]
	v_lshl_add_u32 v101, v101, 3, 0
	v_mov_b32_e32 v57, v54
	ds_write2_b64 v125, v[121:122], v[123:124] offset1:1
	ds_write2_b64 v101, v[40:41], v[42:43] offset1:1
	v_fmac_f32_e32 v71, -0.5, v59
	v_fma_f32 v42, -0.5, v77, v70
	v_fmac_f32_e32 v57, 0xbf737871, v45
	v_fmac_f32_e32 v54, 0x3f737871, v45
	v_mov_b32_e32 v43, v42
	v_mov_b32_e32 v59, v71
	v_fmac_f32_e32 v57, 0x3f167918, v56
	v_fmac_f32_e32 v54, 0xbf167918, v56
	v_fmac_f32_e32 v67, -0.5, v61
	v_fmac_f32_e32 v42, 0x3f737871, v65
	v_fmac_f32_e32 v71, 0xbf737871, v62
	;; [unrolled: 1-line block ×4, first 2 shown]
	v_mov_b32_e32 v49, v67
	v_fmac_f32_e32 v43, 0xbf737871, v65
	v_fmac_f32_e32 v59, 0x3f737871, v62
	v_add_f32_e32 v40, v69, v78
	v_add_f32_e32 v41, v63, v79
	v_fmac_f32_e32 v42, 0xbf167918, v76
	v_fmac_f32_e32 v71, 0x3f167918, v58
	;; [unrolled: 1-line block ×8, first 2 shown]
	v_add_f32_e32 v47, v47, v55
	v_fmac_f32_e32 v49, 0xbf167918, v60
	v_fmac_f32_e32 v67, 0x3f167918, v60
	;; [unrolled: 1-line block ×4, first 2 shown]
	v_mul_f32_e32 v63, 0x3e9e377a, v42
	v_mul_f32_e32 v69, 0x3e9e377a, v71
	v_fmac_f32_e32 v49, 0x3e9e377a, v47
	v_fmac_f32_e32 v67, 0x3e9e377a, v47
	v_mul_f32_e32 v47, 0x3f737871, v59
	v_mul_f32_e32 v55, 0xbf737871, v43
	v_fmac_f32_e32 v64, 0xbf737871, v76
	v_fma_f32 v63, v71, s7, -v63
	v_fmac_f32_e32 v47, 0x3e9e377a, v43
	v_fmac_f32_e32 v55, 0x3e9e377a, v59
	v_fma_f32 v59, v42, s11, -v69
	v_fmac_f32_e32 v64, 0xbf167918, v65
	v_fmac_f32_e32 v72, 0x3f737871, v58
	v_add_f32_e32 v40, v57, v47
	v_add_f32_e32 v41, v49, v55
	;; [unrolled: 1-line block ×4, first 2 shown]
	v_fmac_f32_e32 v64, 0x3e9e377a, v68
	v_fmac_f32_e32 v72, 0x3f167918, v62
	ds_write2_b64 v101, v[40:41], v[42:43] offset0:2 offset1:3
	v_fmac_f32_e32 v44, 0xbf737871, v56
	v_fmac_f32_e32 v52, 0x3f737871, v60
	;; [unrolled: 1-line block ×3, first 2 shown]
	v_mul_f32_e32 v42, 0x3f4f1bbd, v64
	v_fmac_f32_e32 v44, 0xbf167918, v45
	v_fmac_f32_e32 v52, 0x3f167918, v46
	v_fma_f32 v45, v72, s10, -v42
	v_mul_f32_e32 v42, 0x3f4f1bbd, v72
	v_fmac_f32_e32 v44, 0x3e9e377a, v48
	v_fmac_f32_e32 v52, 0x3e9e377a, v53
	v_fma_f32 v46, v64, s12, -v42
	v_sub_f32_e32 v40, v50, v74
	v_sub_f32_e32 v41, v51, v75
	v_add_f32_e32 v42, v44, v45
	v_add_f32_e32 v43, v52, v46
	ds_write2_b64 v101, v[42:43], v[40:41] offset0:4 offset1:5
	v_sub_f32_e32 v40, v99, v97
	v_sub_f32_e32 v41, v100, v98
	v_sub_f32_e32 v42, v57, v47
	v_sub_f32_e32 v43, v49, v55
	ds_write2_b64 v101, v[40:41], v[42:43] offset0:6 offset1:7
	v_sub_f32_e32 v41, v67, v59
	v_sub_f32_e32 v40, v54, v63
	;; [unrolled: 1-line block ×4, first 2 shown]
	ds_write2_b64 v101, v[40:41], v[42:43] offset0:8 offset1:9
	v_sub_f32_e32 v40, v24, v28
	v_sub_f32_e32 v41, v36, v32
	v_add_f32_e32 v44, v40, v41
	v_sub_f32_e32 v40, v25, v29
	v_sub_f32_e32 v41, v37, v33
	v_add_f32_e32 v45, v40, v41
	;; [unrolled: 3-line block ×4, first 2 shown]
	v_add_f32_e32 v40, v16, v20
	v_fma_f32 v48, -0.5, v40, v4
	v_sub_f32_e32 v49, v9, v1
	v_mov_b32_e32 v40, v48
	v_fmac_f32_e32 v40, 0x3f737871, v49
	v_sub_f32_e32 v50, v17, v21
	v_fmac_f32_e32 v40, 0x3f167918, v50
	v_fmac_f32_e32 v40, 0x3e9e377a, v46
	v_mul_f32_e32 v54, 0x3f4f1bbd, v40
	v_mul_f32_e32 v55, 0xbf167918, v40
	v_add_f32_e32 v40, v12, v24
	v_add_f32_e32 v40, v40, v28
	;; [unrolled: 1-line block ×5, first 2 shown]
	v_fma_f32 v57, -0.5, v40, v12
	v_add_f32_e32 v40, v13, v25
	v_add_f32_e32 v40, v40, v29
	;; [unrolled: 1-line block ×5, first 2 shown]
	v_fma_f32 v62, -0.5, v40, v13
	v_add_f32_e32 v40, v4, v8
	v_add_f32_e32 v40, v40, v16
	;; [unrolled: 1-line block ×3, first 2 shown]
	v_sub_f32_e32 v52, v8, v0
	v_sub_f32_e32 v53, v16, v20
	v_add_f32_e32 v66, v40, v0
	v_sub_f32_e32 v20, v20, v0
	v_add_f32_e32 v0, v8, v0
	v_fma_f32 v0, -0.5, v0, v4
	v_add_f32_e32 v40, v5, v9
	v_mov_b32_e32 v4, v0
	v_add_f32_e32 v40, v40, v17
	v_sub_f32_e32 v16, v16, v8
	v_fmac_f32_e32 v4, 0xbf737871, v50
	v_fmac_f32_e32 v0, 0x3f737871, v50
	v_sub_f32_e32 v63, v24, v36
	v_sub_f32_e32 v65, v28, v32
	v_add_f32_e32 v40, v40, v21
	v_sub_f32_e32 v28, v28, v24
	v_add_f32_e32 v24, v24, v36
	v_add_f32_e32 v16, v16, v20
	v_fmac_f32_e32 v4, 0x3f167918, v49
	v_fmac_f32_e32 v0, 0xbf167918, v49
	v_add_f32_e32 v67, v40, v1
	v_fma_f32 v12, -0.5, v24, v12
	v_fmac_f32_e32 v4, 0x3e9e377a, v16
	v_fmac_f32_e32 v0, 0x3e9e377a, v16
	v_sub_f32_e32 v16, v21, v1
	v_add_f32_e32 v1, v9, v1
	v_add_f32_e32 v41, v17, v21
	v_sub_f32_e32 v60, v29, v33
	v_mov_b32_e32 v24, v12
	v_fma_f32 v1, -0.5, v1, v5
	v_fma_f32 v51, -0.5, v41, v5
	v_sub_f32_e32 v58, v25, v37
	v_sub_f32_e32 v32, v32, v36
	v_fmac_f32_e32 v24, 0xbf737871, v60
	v_fmac_f32_e32 v12, 0x3f737871, v60
	v_mov_b32_e32 v5, v1
	v_add_f32_e32 v28, v28, v32
	v_fmac_f32_e32 v24, 0x3f167918, v58
	v_fmac_f32_e32 v12, 0xbf167918, v58
	v_sub_f32_e32 v8, v17, v9
	v_fmac_f32_e32 v5, 0x3f737871, v53
	v_fmac_f32_e32 v24, 0x3e9e377a, v28
	;; [unrolled: 1-line block ×3, first 2 shown]
	v_sub_f32_e32 v28, v29, v25
	v_add_f32_e32 v25, v25, v37
	v_add_f32_e32 v8, v8, v16
	v_fmac_f32_e32 v5, 0xbf167918, v52
	v_fmac_f32_e32 v1, 0xbf737871, v53
	v_fma_f32 v13, -0.5, v25, v13
	v_fmac_f32_e32 v5, 0x3e9e377a, v8
	v_fmac_f32_e32 v1, 0x3f167918, v52
	v_mov_b32_e32 v25, v13
	v_fmac_f32_e32 v1, 0x3e9e377a, v8
	v_mul_f32_e32 v8, 0x3f737871, v5
	v_sub_f32_e32 v29, v33, v37
	v_fmac_f32_e32 v25, 0x3f737871, v65
	v_fmac_f32_e32 v13, 0xbf737871, v65
	;; [unrolled: 1-line block ×3, first 2 shown]
	v_mul_f32_e32 v9, 0xbf737871, v4
	v_mul_f32_e32 v4, 0x3e9e377a, v0
	v_add_f32_e32 v28, v28, v29
	v_fmac_f32_e32 v25, 0xbf167918, v63
	v_fmac_f32_e32 v13, 0x3f167918, v63
	v_fma_f32 v16, v1, s7, -v4
	v_mul_f32_e32 v1, 0x3e9e377a, v1
	v_fmac_f32_e32 v48, 0xbf737871, v49
	v_mov_b32_e32 v41, v51
	v_mul_i32_i24_e32 v68, 10, v87
	v_fmac_f32_e32 v25, 0x3e9e377a, v28
	v_fmac_f32_e32 v13, 0x3e9e377a, v28
	;; [unrolled: 1-line block ×3, first 2 shown]
	v_fma_f32 v17, v0, s11, -v1
	v_fmac_f32_e32 v48, 0xbf167918, v50
	v_fmac_f32_e32 v51, 0x3f737871, v52
	v_lshl_add_u32 v68, v68, 3, 0
	v_add_f32_e32 v0, v24, v8
	v_add_f32_e32 v1, v25, v9
	;; [unrolled: 1-line block ×4, first 2 shown]
	v_fmac_f32_e32 v48, 0x3e9e377a, v46
	v_fmac_f32_e32 v51, 0x3f167918, v53
	;; [unrolled: 1-line block ×3, first 2 shown]
	v_mov_b32_e32 v59, v57
	v_mov_b32_e32 v64, v62
	ds_write2_b64 v68, v[0:1], v[4:5] offset0:2 offset1:3
	v_fmac_f32_e32 v57, 0xbf737871, v58
	v_fmac_f32_e32 v62, 0x3f737871, v63
	;; [unrolled: 1-line block ×3, first 2 shown]
	v_mul_f32_e32 v4, 0x3f4f1bbd, v48
	v_fmac_f32_e32 v41, 0xbf167918, v53
	v_fmac_f32_e32 v59, 0x3f737871, v58
	;; [unrolled: 1-line block ×5, first 2 shown]
	v_fma_f32 v20, v51, s10, -v4
	v_mul_f32_e32 v4, 0x3f4f1bbd, v51
	v_fmac_f32_e32 v41, 0x3e9e377a, v47
	v_fmac_f32_e32 v59, 0x3f167918, v60
	;; [unrolled: 1-line block ×5, first 2 shown]
	v_fma_f32 v21, v48, s12, -v4
	v_fmac_f32_e32 v54, 0x3f167918, v41
	v_fmac_f32_e32 v55, 0x3f4f1bbd, v41
	;; [unrolled: 1-line block ×4, first 2 shown]
	v_sub_f32_e32 v0, v56, v66
	v_sub_f32_e32 v1, v61, v67
	v_add_f32_e32 v4, v57, v20
	v_add_f32_e32 v5, v62, v21
	ds_write2_b64 v68, v[4:5], v[0:1] offset0:4 offset1:5
	v_sub_f32_e32 v0, v59, v54
	v_sub_f32_e32 v1, v64, v55
	;; [unrolled: 1-line block ×4, first 2 shown]
	v_add_f32_e32 v40, v56, v66
	v_add_f32_e32 v41, v61, v67
	;; [unrolled: 1-line block ×4, first 2 shown]
	ds_write2_b64 v68, v[0:1], v[4:5] offset0:6 offset1:7
	v_sub_f32_e32 v0, v12, v16
	v_sub_f32_e32 v1, v13, v17
	;; [unrolled: 1-line block ×4, first 2 shown]
	s_movk_i32 s6, 0x1000
	v_cmp_gt_u32_e32 vcc, 36, v80
	ds_write2_b64 v68, v[40:41], v[42:43] offset1:1
	ds_write2_b64 v68, v[0:1], v[4:5] offset0:8 offset1:9
	s_and_saveexec_b64 s[4:5], vcc
	s_cbranch_execz .LBB0_15
; %bb.14:
	v_sub_f32_e32 v0, v27, v31
	v_sub_f32_e32 v1, v39, v35
	v_add_f32_e32 v0, v0, v1
	v_add_f32_e32 v1, v31, v35
	v_fma_f32 v13, -0.5, v1, v15
	v_sub_f32_e32 v1, v10, v18
	v_sub_f32_e32 v4, v2, v22
	v_add_f32_e32 v12, v1, v4
	v_add_f32_e32 v1, v18, v22
	v_sub_f32_e32 v9, v26, v38
	v_mov_b32_e32 v16, v13
	v_fma_f32 v17, -0.5, v1, v6
	v_sub_f32_e32 v1, v11, v19
	v_sub_f32_e32 v4, v3, v23
	;; [unrolled: 1-line block ×3, first 2 shown]
	v_fmac_f32_e32 v16, 0x3f737871, v9
	v_add_f32_e32 v25, v1, v4
	v_sub_f32_e32 v4, v31, v27
	v_sub_f32_e32 v8, v35, v39
	v_fmac_f32_e32 v13, 0xbf737871, v9
	v_fmac_f32_e32 v16, 0x3f167918, v5
	v_add_f32_e32 v8, v4, v8
	v_add_f32_e32 v4, v27, v39
	v_fmac_f32_e32 v13, 0xbf167918, v5
	v_fmac_f32_e32 v16, 0x3e9e377a, v0
	v_fma_f32 v37, -0.5, v4, v15
	v_fmac_f32_e32 v13, 0x3e9e377a, v0
	v_add_f32_e32 v0, v15, v27
	v_mov_b32_e32 v40, v37
	v_sub_f32_e32 v4, v18, v10
	v_sub_f32_e32 v41, v22, v2
	v_add_f32_e32 v0, v0, v31
	v_fmac_f32_e32 v40, 0xbf737871, v5
	v_add_f32_e32 v41, v4, v41
	v_add_f32_e32 v4, v10, v2
	v_fmac_f32_e32 v37, 0x3f737871, v5
	v_add_f32_e32 v0, v0, v35
	v_fmac_f32_e32 v40, 0x3f167918, v9
	v_fma_f32 v42, -0.5, v4, v6
	v_fmac_f32_e32 v37, 0xbf167918, v9
	v_add_f32_e32 v9, v0, v39
	v_add_f32_e32 v0, v7, v11
	v_sub_f32_e32 v24, v19, v23
	v_mov_b32_e32 v43, v42
	v_add_f32_e32 v0, v0, v19
	v_sub_f32_e32 v20, v11, v3
	v_mov_b32_e32 v21, v17
	v_add_f32_e32 v1, v19, v23
	v_fmac_f32_e32 v43, 0x3f737871, v24
	v_sub_f32_e32 v4, v19, v11
	v_sub_f32_e32 v44, v23, v3
	v_fmac_f32_e32 v42, 0xbf737871, v24
	v_add_f32_e32 v0, v0, v23
	v_fmac_f32_e32 v21, 0xbf737871, v20
	v_fma_f32 v32, -0.5, v1, v7
	v_fmac_f32_e32 v43, 0xbf167918, v20
	v_add_f32_e32 v44, v4, v44
	v_add_f32_e32 v4, v11, v3
	v_fmac_f32_e32 v42, 0x3f167918, v20
	v_fmac_f32_e32 v17, 0x3f737871, v20
	v_add_f32_e32 v20, v0, v3
	v_sub_f32_e32 v0, v26, v30
	v_sub_f32_e32 v3, v38, v34
	;; [unrolled: 1-line block ×3, first 2 shown]
	v_mov_b32_e32 v33, v32
	v_fma_f32 v45, -0.5, v4, v7
	v_add_f32_e32 v11, v0, v3
	v_sub_f32_e32 v3, v30, v26
	v_sub_f32_e32 v7, v34, v38
	;; [unrolled: 1-line block ×3, first 2 shown]
	v_fmac_f32_e32 v33, 0x3f737871, v29
	v_mov_b32_e32 v46, v45
	v_fmac_f32_e32 v32, 0xbf737871, v29
	v_add_f32_e32 v0, v30, v34
	v_add_f32_e32 v7, v3, v7
	;; [unrolled: 1-line block ×3, first 2 shown]
	v_fmac_f32_e32 v33, 0x3f167918, v28
	v_fmac_f32_e32 v46, 0xbf737871, v28
	;; [unrolled: 1-line block ×4, first 2 shown]
	v_fma_f32 v23, -0.5, v0, v14
	v_fma_f32 v28, -0.5, v3, v14
	v_add_f32_e32 v14, v14, v26
	v_add_f32_e32 v6, v6, v10
	v_fmac_f32_e32 v21, 0xbf167918, v24
	v_fmac_f32_e32 v17, 0x3f167918, v24
	v_sub_f32_e32 v19, v27, v39
	v_mov_b32_e32 v24, v23
	v_add_f32_e32 v14, v14, v30
	v_add_f32_e32 v6, v6, v18
	v_fmac_f32_e32 v21, 0x3e9e377a, v12
	v_fmac_f32_e32 v33, 0x3e9e377a, v25
	;; [unrolled: 1-line block ×7, first 2 shown]
	v_sub_f32_e32 v25, v31, v35
	v_mov_b32_e32 v29, v28
	v_fmac_f32_e32 v23, 0x3f737871, v19
	v_add_f32_e32 v14, v14, v34
	v_add_f32_e32 v6, v6, v22
	v_mul_f32_e32 v1, 0x3f4f1bbd, v33
	v_fmac_f32_e32 v43, 0x3e9e377a, v41
	v_fmac_f32_e32 v46, 0x3e9e377a, v44
	;; [unrolled: 1-line block ×4, first 2 shown]
	v_mul_f32_e32 v5, 0xbf167918, v17
	v_fmac_f32_e32 v24, 0xbf167918, v25
	v_mul_f32_e32 v0, 0x3f4f1bbd, v21
	v_fmac_f32_e32 v29, 0x3f737871, v25
	v_fmac_f32_e32 v28, 0xbf737871, v25
	;; [unrolled: 1-line block ×3, first 2 shown]
	v_mul_f32_e32 v25, 0x3f4f1bbd, v17
	v_add_f32_e32 v26, v14, v38
	v_add_f32_e32 v2, v6, v2
	v_fma_f32 v36, v21, s12, -v1
	v_mul_f32_e32 v4, 0x3e9e377a, v46
	v_mul_f32_e32 v41, 0xbf737871, v42
	v_fmac_f32_e32 v5, 0x3f4f1bbd, v32
	v_sub_f32_e32 v15, v9, v20
	v_fma_f32 v27, v33, s10, -v0
	v_fmac_f32_e32 v29, 0xbf167918, v19
	v_mul_f32_e32 v3, 0x3e9e377a, v43
	v_fmac_f32_e32 v28, 0x3f167918, v19
	v_mul_f32_e32 v33, 0x3f737871, v45
	v_fmac_f32_e32 v23, 0x3e9e377a, v11
	v_fmac_f32_e32 v25, 0x3f167918, v32
	v_sub_f32_e32 v14, v26, v2
	v_add_f32_e32 v21, v9, v20
	v_add_f32_e32 v20, v26, v2
	v_mul_i32_i24_e32 v2, 10, v86
	v_fmac_f32_e32 v40, 0x3e9e377a, v8
	v_fma_f32 v47, v43, s11, -v4
	v_fmac_f32_e32 v37, 0x3e9e377a, v8
	v_fmac_f32_e32 v41, 0x3e9e377a, v45
	;; [unrolled: 1-line block ×4, first 2 shown]
	v_fma_f32 v31, v46, s7, -v3
	v_fmac_f32_e32 v28, 0x3e9e377a, v7
	v_fmac_f32_e32 v33, 0x3e9e377a, v42
	v_add_f32_e32 v19, v13, v5
	v_add_f32_e32 v18, v23, v25
	v_lshl_add_u32 v2, v2, 3, 0
	v_sub_f32_e32 v1, v16, v36
	v_sub_f32_e32 v4, v40, v47
	;; [unrolled: 1-line block ×8, first 2 shown]
	v_add_f32_e32 v6, v16, v36
	v_add_f32_e32 v10, v40, v47
	;; [unrolled: 1-line block ×6, first 2 shown]
	ds_write2_b64 v2, v[20:21], v[18:19] offset1:1
	ds_write2_b64 v2, v[16:17], v[9:10] offset0:2 offset1:3
	ds_write2_b64 v2, v[5:6], v[14:15] offset0:4 offset1:5
	;; [unrolled: 1-line block ×4, first 2 shown]
.LBB0_15:
	s_or_b64 exec, exec, s[4:5]
	s_movk_i32 s4, 0xcd
	v_mul_lo_u16_sdwa v0, v82, s4 dst_sel:DWORD dst_unused:UNUSED_PAD src0_sel:BYTE_0 src1_sel:DWORD
	v_lshrrev_b16_e32 v15, 11, v0
	v_mul_lo_u16_e32 v0, 10, v15
	v_mov_b32_e32 v9, 5
	v_sub_u16_e32 v16, v82, v0
	v_mul_u32_u24_sdwa v0, v16, v9 dst_sel:DWORD dst_unused:UNUSED_PAD src0_sel:BYTE_0 src1_sel:DWORD
	v_lshlrev_b32_e32 v11, 3, v0
	v_mul_lo_u16_sdwa v0, v87, s4 dst_sel:DWORD dst_unused:UNUSED_PAD src0_sel:BYTE_0 src1_sel:DWORD
	v_lshrrev_b16_e32 v17, 11, v0
	v_mul_lo_u16_e32 v0, 10, v17
	s_waitcnt lgkmcnt(0)
	; wave barrier
	s_waitcnt lgkmcnt(0)
	global_load_dwordx4 v[27:30], v11, s[8:9]
	v_sub_u16_e32 v18, v87, v0
	v_mul_u32_u24_sdwa v0, v18, v9 dst_sel:DWORD dst_unused:UNUSED_PAD src0_sel:BYTE_0 src1_sel:DWORD
	v_lshlrev_b32_e32 v13, 3, v0
	global_load_dwordx4 v[31:34], v13, s[8:9]
	global_load_dwordx4 v[35:38], v11, s[8:9] offset:16
	global_load_dwordx4 v[39:42], v13, s[8:9] offset:16
	v_mul_lo_u16_sdwa v0, v86, s4 dst_sel:DWORD dst_unused:UNUSED_PAD src0_sel:BYTE_0 src1_sel:DWORD
	v_lshrrev_b16_e32 v19, 11, v0
	v_mul_lo_u16_e32 v0, 10, v19
	v_sub_u16_e32 v20, v86, v0
	v_add_u32_e32 v12, 0xf0, v80
	v_mul_u32_u24_sdwa v0, v20, v9 dst_sel:DWORD dst_unused:UNUSED_PAD src0_sel:BYTE_0 src1_sel:DWORD
	s_mov_b32 s5, 0xcccd
	v_lshlrev_b32_e32 v14, 3, v0
	v_mul_u32_u24_sdwa v0, v12, s5 dst_sel:DWORD dst_unused:UNUSED_PAD src0_sel:WORD_0 src1_sel:DWORD
	global_load_dwordx4 v[43:46], v14, s[8:9]
	v_lshrrev_b32_e32 v21, 19, v0
	v_mul_lo_u16_e32 v0, 10, v21
	v_sub_u16_e32 v22, v12, v0
	v_mul_u32_u24_e32 v0, 5, v22
	v_lshlrev_b32_e32 v79, 3, v0
	global_load_dwordx4 v[47:50], v79, s[8:9]
	ds_read2_b64 v[4:7], v89 offset1:240
	ds_read2_b64 v[0:3], v93 offset0:44 offset1:104
	ds_read2_b64 v[51:54], v90 offset0:148 offset1:208
	;; [unrolled: 1-line block ×5, first 2 shown]
	global_load_dwordx4 v[67:70], v14, s[8:9] offset:16
	ds_read2_b64 v[71:74], v94 offset0:116 offset1:176
	ds_read2_b64 v[75:78], v95 offset0:92 offset1:152
	;; [unrolled: 1-line block ×4, first 2 shown]
	global_load_dwordx4 v[105:108], v79, s[8:9] offset:16
	v_mul_lo_u16_sdwa v10, v80, s4 dst_sel:DWORD dst_unused:UNUSED_PAD src0_sel:BYTE_0 src1_sel:DWORD
	v_lshrrev_b16_e32 v25, 11, v10
	v_mul_lo_u16_e32 v10, 10, v25
	v_add_u32_e32 v8, 0x12c, v80
	v_sub_u16_e32 v26, v80, v10
	v_mul_u32_u24_sdwa v23, v8, s5 dst_sel:DWORD dst_unused:UNUSED_PAD src0_sel:WORD_0 src1_sel:DWORD
	v_mul_u32_u24_sdwa v9, v26, v9 dst_sel:DWORD dst_unused:UNUSED_PAD src0_sel:BYTE_0 src1_sel:DWORD
	v_lshrrev_b32_e32 v23, 19, v23
	v_lshlrev_b32_e32 v118, 3, v9
	v_mul_lo_u16_e32 v24, 10, v23
	global_load_dwordx2 v[109:110], v118, s[8:9] offset:32
	global_load_dwordx2 v[9:10], v11, s[8:9] offset:32
	;; [unrolled: 1-line block ×5, first 2 shown]
	v_sub_u16_e32 v24, v8, v24
	v_mul_u32_u24_e32 v117, 5, v24
	v_mul_u32_u24_e32 v25, 0x1e0, v25
	s_movk_i32 s4, 0x89
	s_mov_b32 s5, 0x8889
	s_waitcnt vmcnt(12) lgkmcnt(5)
	v_mul_f32_e32 v11, v60, v28
	v_mul_f32_e32 v79, v59, v28
	s_waitcnt lgkmcnt(4)
	v_mul_f32_e32 v13, v64, v30
	v_mul_f32_e32 v119, v63, v30
	s_waitcnt vmcnt(11)
	v_mul_f32_e32 v14, v62, v32
	v_mul_f32_e32 v120, v61, v32
	v_fma_f32 v121, v59, v27, -v11
	v_mul_f32_e32 v11, v66, v34
	v_fmac_f32_e32 v79, v60, v27
	v_fma_f32 v122, v63, v29, -v13
	v_fmac_f32_e32 v119, v64, v29
	v_fma_f32 v123, v61, v31, -v14
	v_fmac_f32_e32 v120, v62, v31
	global_load_dwordx4 v[27:30], v118, s[8:9] offset:16
	global_load_dwordx4 v[59:62], v118, s[8:9]
	v_mul_f32_e32 v118, v65, v34
	v_fma_f32 v65, v65, v33, -v11
	s_waitcnt vmcnt(12) lgkmcnt(3)
	v_mul_f32_e32 v11, v72, v36
	v_fmac_f32_e32 v118, v66, v33
	v_mul_f32_e32 v66, v71, v36
	v_fma_f32 v71, v71, v35, -v11
	v_lshlrev_b32_e32 v11, 3, v117
	global_load_dwordx4 v[31:34], v11, s[8:9]
	s_waitcnt lgkmcnt(2)
	v_mul_f32_e32 v13, v76, v38
	v_fmac_f32_e32 v66, v72, v35
	v_fma_f32 v72, v75, v37, -v13
	v_mul_f32_e32 v75, v75, v38
	s_waitcnt vmcnt(12)
	v_mul_f32_e32 v14, v74, v40
	v_fmac_f32_e32 v75, v76, v37
	v_fma_f32 v76, v73, v39, -v14
	v_mul_f32_e32 v73, v73, v40
	v_mul_f32_e32 v14, v78, v42
	v_add_u32_e32 v13, 0x2400, v89
	v_fmac_f32_e32 v73, v74, v39
	v_fma_f32 v74, v77, v41, -v14
	v_mul_f32_e32 v77, v77, v42
	v_fmac_f32_e32 v77, v78, v41
	ds_read2_b64 v[35:38], v13 offset0:108 offset1:168
	global_load_dwordx2 v[63:64], v11, s[8:9] offset:32
	global_load_dwordx4 v[39:42], v11, s[8:9] offset:16
	s_waitcnt vmcnt(13) lgkmcnt(2)
	v_mul_f32_e32 v14, v98, v44
	v_fma_f32 v78, v97, v43, -v14
	v_mul_f32_e32 v97, v97, v44
	s_waitcnt lgkmcnt(1)
	v_mul_f32_e32 v14, v102, v46
	v_fmac_f32_e32 v97, v98, v43
	v_fma_f32 v98, v101, v45, -v14
	v_mul_f32_e32 v101, v101, v46
	v_fmac_f32_e32 v101, v102, v45
	ds_read2_b64 v[43:46], v88 offset0:84 offset1:144
	s_waitcnt vmcnt(12)
	v_mul_f32_e32 v14, v100, v48
	v_fma_f32 v102, v99, v47, -v14
	v_mul_f32_e32 v99, v99, v48
	v_mul_f32_e32 v11, v104, v50
	v_fmac_f32_e32 v99, v100, v47
	v_fma_f32 v100, v103, v49, -v11
	v_mul_f32_e32 v103, v103, v50
	s_waitcnt vmcnt(11) lgkmcnt(1)
	v_mul_f32_e32 v11, v36, v68
	v_fmac_f32_e32 v103, v104, v49
	v_fma_f32 v104, v35, v67, -v11
	v_mul_f32_e32 v68, v35, v68
	s_waitcnt lgkmcnt(0)
	v_mul_f32_e32 v11, v44, v70
	ds_read2_b64 v[47:50], v92 offset0:68 offset1:128
	v_fmac_f32_e32 v68, v36, v67
	v_fma_f32 v67, v43, v69, -v11
	s_waitcnt vmcnt(10)
	v_mul_f32_e32 v11, v38, v106
	v_mul_f32_e32 v70, v43, v70
	v_fma_f32 v117, v37, v105, -v11
	v_mul_f32_e32 v106, v37, v106
	v_mul_f32_e32 v11, v46, v108
	;; [unrolled: 1-line block ×3, first 2 shown]
	v_fmac_f32_e32 v70, v44, v69
	v_fmac_f32_e32 v106, v38, v105
	v_fma_f32 v105, v45, v107, -v11
	v_fmac_f32_e32 v108, v46, v107
	ds_read2_b64 v[35:38], v83 offset0:100 offset1:160
	ds_read2_b64 v[43:46], v92 offset0:188 offset1:248
	s_waitcnt vmcnt(8) lgkmcnt(2)
	v_mul_f32_e32 v11, v48, v10
	v_fma_f32 v69, v47, v9, -v11
	v_mul_f32_e32 v47, v47, v10
	v_fmac_f32_e32 v47, v48, v9
	s_waitcnt vmcnt(7)
	v_mul_f32_e32 v9, v50, v112
	v_fma_f32 v107, v49, v111, -v9
	v_mul_f32_e32 v112, v49, v112
	s_waitcnt vmcnt(6) lgkmcnt(0)
	v_mul_f32_e32 v9, v44, v114
	v_fmac_f32_e32 v112, v50, v111
	v_fma_f32 v111, v43, v113, -v9
	v_mul_f32_e32 v114, v43, v114
	s_waitcnt vmcnt(5)
	v_mul_f32_e32 v9, v46, v116
	v_fmac_f32_e32 v114, v44, v113
	v_fma_f32 v113, v45, v115, -v9
	v_add_u32_e32 v14, 0x3400, v89
	v_mul_f32_e32 v116, v45, v116
	v_fmac_f32_e32 v116, v46, v115
	ds_read2_b64 v[43:46], v14 offset0:76 offset1:136
	v_lshl_add_u32 v11, v82, 3, 0
	v_lshl_add_u32 v10, v87, 3, 0
	s_waitcnt vmcnt(3)
	v_mul_f32_e32 v9, v3, v60
	v_fma_f32 v48, v2, v59, -v9
	v_mul_f32_e32 v49, v2, v60
	v_mul_f32_e32 v2, v54, v62
	v_fma_f32 v50, v53, v61, -v2
	v_fmac_f32_e32 v49, v3, v59
	v_lshl_add_u32 v9, v86, 3, 0
	v_mul_f32_e32 v53, v53, v62
	s_waitcnt vmcnt(2)
	v_mul_f32_e32 v2, v52, v32
	v_fma_f32 v115, v51, v31, -v2
	v_mul_f32_e32 v2, v58, v28
	v_mul_f32_e32 v124, v51, v32
	v_fma_f32 v51, v57, v27, -v2
	v_mul_f32_e32 v2, v56, v34
	v_mul_f32_e32 v126, v55, v34
	v_fmac_f32_e32 v124, v52, v31
	v_mul_f32_e32 v52, v57, v28
	v_fma_f32 v125, v55, v33, -v2
	v_fmac_f32_e32 v126, v56, v33
	v_mul_f32_e32 v33, v38, v30
	v_mul_f32_e32 v34, v37, v30
	v_fmac_f32_e32 v52, v58, v27
	ds_read_b64 v[2:3], v11
	ds_read_b64 v[27:28], v10
	;; [unrolled: 1-line block ×3, first 2 shown]
	v_fma_f32 v33, v37, v29, -v33
	v_fmac_f32_e32 v34, v38, v29
	ds_read_b64 v[29:30], v89 offset:16800
	s_waitcnt lgkmcnt(4)
	v_mul_f32_e32 v37, v46, v110
	v_fma_f32 v37, v45, v109, -v37
	v_mul_f32_e32 v38, v45, v110
	s_waitcnt vmcnt(0)
	v_mul_f32_e32 v45, v36, v40
	v_fmac_f32_e32 v38, v46, v109
	v_fma_f32 v109, v35, v39, -v45
	v_mul_f32_e32 v110, v35, v40
	v_mul_f32_e32 v35, v44, v42
	v_fma_f32 v127, v43, v41, -v35
	s_waitcnt lgkmcnt(0)
	v_mul_f32_e32 v35, v30, v64
	v_fma_f32 v129, v29, v63, -v35
	v_mul_f32_e32 v130, v29, v64
	v_add_f32_e32 v29, v4, v50
	v_add_f32_e32 v35, v29, v33
	;; [unrolled: 1-line block ×3, first 2 shown]
	v_fmac_f32_e32 v53, v54, v61
	v_fmac_f32_e32 v110, v36, v39
	v_fma_f32 v36, -0.5, v29, v4
	v_sub_f32_e32 v4, v53, v34
	v_mov_b32_e32 v39, v36
	v_fmac_f32_e32 v39, 0x3f5db3d7, v4
	v_fmac_f32_e32 v36, 0xbf5db3d7, v4
	v_add_f32_e32 v4, v5, v53
	v_mul_f32_e32 v128, v43, v42
	v_add_f32_e32 v40, v4, v34
	v_add_f32_e32 v4, v53, v34
	v_fmac_f32_e32 v128, v44, v41
	v_fma_f32 v41, -0.5, v4, v5
	v_sub_f32_e32 v4, v50, v33
	v_mov_b32_e32 v42, v41
	v_fmac_f32_e32 v42, 0xbf5db3d7, v4
	v_fmac_f32_e32 v41, 0x3f5db3d7, v4
	v_add_f32_e32 v4, v48, v51
	v_add_f32_e32 v43, v4, v37
	;; [unrolled: 1-line block ×3, first 2 shown]
	v_fmac_f32_e32 v48, -0.5, v4
	v_fmac_f32_e32 v130, v30, v63
	v_sub_f32_e32 v4, v52, v38
	v_mov_b32_e32 v30, v48
	v_fmac_f32_e32 v30, 0x3f5db3d7, v4
	v_fmac_f32_e32 v48, 0xbf5db3d7, v4
	v_add_f32_e32 v4, v49, v52
	v_add_f32_e32 v44, v4, v38
	;; [unrolled: 1-line block ×3, first 2 shown]
	v_fmac_f32_e32 v49, -0.5, v4
	v_sub_f32_e32 v4, v51, v37
	v_mov_b32_e32 v34, v49
	v_fmac_f32_e32 v34, 0xbf5db3d7, v4
	v_fmac_f32_e32 v49, 0x3f5db3d7, v4
	v_mul_f32_e32 v37, 0x3f5db3d7, v34
	v_mul_f32_e32 v38, -0.5, v48
	v_mul_f32_e32 v46, -0.5, v49
	v_fmac_f32_e32 v37, 0.5, v30
	v_fmac_f32_e32 v38, 0x3f5db3d7, v49
	v_mul_f32_e32 v45, 0xbf5db3d7, v30
	v_fmac_f32_e32 v46, 0xbf5db3d7, v48
	v_add_f32_e32 v29, v39, v37
	v_add_f32_e32 v33, v36, v38
	;; [unrolled: 1-line block ×3, first 2 shown]
	v_fmac_f32_e32 v45, 0.5, v34
	v_add_f32_e32 v34, v41, v46
	v_sub_f32_e32 v37, v39, v37
	v_sub_f32_e32 v39, v36, v38
	;; [unrolled: 1-line block ×4, first 2 shown]
	v_add_f32_e32 v41, v2, v122
	v_add_f32_e32 v48, v41, v72
	;; [unrolled: 1-line block ×3, first 2 shown]
	v_fma_f32 v2, -0.5, v41, v2
	v_sub_f32_e32 v41, v119, v75
	v_mov_b32_e32 v49, v2
	v_fmac_f32_e32 v49, 0x3f5db3d7, v41
	v_fmac_f32_e32 v2, 0xbf5db3d7, v41
	v_add_f32_e32 v41, v3, v119
	v_add_f32_e32 v50, v41, v75
	v_add_f32_e32 v41, v119, v75
	v_fmac_f32_e32 v3, -0.5, v41
	v_sub_f32_e32 v41, v122, v72
	v_mov_b32_e32 v51, v3
	v_fmac_f32_e32 v51, 0xbf5db3d7, v41
	v_fmac_f32_e32 v3, 0x3f5db3d7, v41
	v_add_f32_e32 v41, v121, v71
	v_add_f32_e32 v52, v41, v69
	v_add_f32_e32 v41, v71, v69
	v_fmac_f32_e32 v121, -0.5, v41
	;; [unrolled: 8-line block ×3, first 2 shown]
	v_sub_f32_e32 v41, v71, v69
	v_mov_b32_e32 v46, v79
	v_fmac_f32_e32 v46, 0xbf5db3d7, v41
	v_fmac_f32_e32 v79, 0x3f5db3d7, v41
	v_mul_f32_e32 v56, 0xbf5db3d7, v44
	v_mul_f32_e32 v54, 0x3f5db3d7, v46
	v_fmac_f32_e32 v56, 0.5, v46
	v_mul_f32_e32 v57, -0.5, v79
	v_add_f32_e32 v30, v42, v45
	v_sub_f32_e32 v38, v42, v45
	v_add_f32_e32 v41, v48, v52
	v_fmac_f32_e32 v54, 0.5, v44
	v_add_f32_e32 v42, v50, v53
	v_add_f32_e32 v44, v51, v56
	v_fmac_f32_e32 v57, 0xbf5db3d7, v121
	v_sub_f32_e32 v47, v48, v52
	v_sub_f32_e32 v48, v50, v53
	v_sub_f32_e32 v50, v51, v56
	v_add_f32_e32 v51, v27, v65
	v_add_f32_e32 v46, v3, v57
	v_sub_f32_e32 v3, v3, v57
	v_add_f32_e32 v57, v51, v74
	v_add_f32_e32 v51, v65, v74
	v_fma_f32 v27, -0.5, v51, v27
	v_sub_f32_e32 v51, v118, v77
	v_mov_b32_e32 v58, v27
	v_fmac_f32_e32 v58, 0x3f5db3d7, v51
	v_fmac_f32_e32 v27, 0xbf5db3d7, v51
	v_add_f32_e32 v51, v28, v118
	v_add_f32_e32 v60, v51, v77
	;; [unrolled: 1-line block ×3, first 2 shown]
	v_fmac_f32_e32 v28, -0.5, v51
	v_sub_f32_e32 v51, v65, v74
	v_mov_b32_e32 v61, v28
	v_fmac_f32_e32 v61, 0xbf5db3d7, v51
	v_fmac_f32_e32 v28, 0x3f5db3d7, v51
	v_add_f32_e32 v51, v123, v76
	v_add_f32_e32 v59, v51, v107
	;; [unrolled: 1-line block ×3, first 2 shown]
	v_fmac_f32_e32 v123, -0.5, v51
	v_add_f32_e32 v4, v35, v43
	v_sub_f32_e32 v35, v35, v43
	v_add_f32_e32 v43, v49, v54
	v_sub_f32_e32 v49, v49, v54
	v_sub_f32_e32 v51, v73, v112
	v_mov_b32_e32 v54, v123
	v_fmac_f32_e32 v54, 0x3f5db3d7, v51
	v_fmac_f32_e32 v123, 0xbf5db3d7, v51
	v_add_f32_e32 v51, v120, v73
	v_add_f32_e32 v62, v51, v112
	;; [unrolled: 1-line block ×3, first 2 shown]
	v_fmac_f32_e32 v120, -0.5, v51
	v_sub_f32_e32 v51, v76, v107
	v_mov_b32_e32 v56, v120
	v_fmac_f32_e32 v56, 0xbf5db3d7, v51
	v_mul_f32_e32 v63, 0x3f5db3d7, v56
	v_mul_f32_e32 v65, 0xbf5db3d7, v54
	v_fmac_f32_e32 v63, 0.5, v54
	v_fmac_f32_e32 v65, 0.5, v56
	v_fmac_f32_e32 v120, 0x3f5db3d7, v51
	v_add_f32_e32 v51, v57, v59
	v_add_f32_e32 v53, v58, v63
	;; [unrolled: 1-line block ×4, first 2 shown]
	v_sub_f32_e32 v57, v57, v59
	v_sub_f32_e32 v59, v58, v63
	;; [unrolled: 1-line block ×4, first 2 shown]
	v_add_f32_e32 v61, v31, v98
	v_add_f32_e32 v69, v61, v67
	;; [unrolled: 1-line block ×3, first 2 shown]
	v_fma_f32 v31, -0.5, v61, v31
	v_sub_f32_e32 v61, v101, v70
	v_mov_b32_e32 v71, v31
	v_fmac_f32_e32 v71, 0x3f5db3d7, v61
	v_fmac_f32_e32 v31, 0xbf5db3d7, v61
	v_add_f32_e32 v61, v32, v101
	v_add_f32_e32 v72, v61, v70
	;; [unrolled: 1-line block ×3, first 2 shown]
	v_fmac_f32_e32 v32, -0.5, v61
	v_sub_f32_e32 v61, v98, v67
	v_mov_b32_e32 v70, v32
	v_fmac_f32_e32 v70, 0xbf5db3d7, v61
	v_fmac_f32_e32 v32, 0x3f5db3d7, v61
	v_add_f32_e32 v61, v78, v104
	v_mul_f32_e32 v55, -0.5, v121
	v_mul_f32_e32 v64, -0.5, v123
	v_add_f32_e32 v67, v61, v111
	v_add_f32_e32 v61, v104, v111
	v_fmac_f32_e32 v55, 0x3f5db3d7, v79
	v_fmac_f32_e32 v64, 0x3f5db3d7, v120
	v_fmac_f32_e32 v78, -0.5, v61
	v_add_f32_e32 v45, v2, v55
	v_sub_f32_e32 v2, v2, v55
	v_add_f32_e32 v55, v27, v64
	v_sub_f32_e32 v27, v27, v64
	v_sub_f32_e32 v61, v68, v114
	v_mov_b32_e32 v64, v78
	v_fmac_f32_e32 v64, 0x3f5db3d7, v61
	v_fmac_f32_e32 v78, 0xbf5db3d7, v61
	v_add_f32_e32 v61, v97, v68
	v_mul_f32_e32 v66, -0.5, v120
	v_add_f32_e32 v73, v61, v114
	v_add_f32_e32 v61, v68, v114
	v_fmac_f32_e32 v66, 0xbf5db3d7, v123
	v_fmac_f32_e32 v97, -0.5, v61
	v_add_f32_e32 v56, v28, v66
	v_sub_f32_e32 v28, v28, v66
	v_sub_f32_e32 v61, v104, v111
	v_mov_b32_e32 v66, v97
	v_fmac_f32_e32 v66, 0xbf5db3d7, v61
	v_mul_f32_e32 v68, 0x3f5db3d7, v66
	v_fmac_f32_e32 v68, 0.5, v64
	v_fmac_f32_e32 v97, 0x3f5db3d7, v61
	v_add_f32_e32 v61, v69, v67
	v_add_f32_e32 v63, v71, v68
	v_sub_f32_e32 v67, v69, v67
	v_sub_f32_e32 v69, v71, v68
	v_add_f32_e32 v71, v6, v100
	v_add_f32_e32 v77, v71, v105
	;; [unrolled: 1-line block ×3, first 2 shown]
	v_mul_f32_e32 v76, -0.5, v97
	v_fma_f32 v6, -0.5, v71, v6
	v_mul_f32_e32 v74, -0.5, v78
	v_fmac_f32_e32 v76, 0xbf5db3d7, v78
	v_sub_f32_e32 v71, v103, v108
	v_mov_b32_e32 v78, v6
	v_fmac_f32_e32 v78, 0x3f5db3d7, v71
	v_fmac_f32_e32 v6, 0xbf5db3d7, v71
	v_add_f32_e32 v71, v7, v103
	v_add_f32_e32 v79, v71, v108
	;; [unrolled: 1-line block ×3, first 2 shown]
	v_fmac_f32_e32 v7, -0.5, v71
	v_sub_f32_e32 v71, v100, v105
	v_mov_b32_e32 v98, v7
	v_fmac_f32_e32 v98, 0xbf5db3d7, v71
	v_fmac_f32_e32 v7, 0x3f5db3d7, v71
	v_add_f32_e32 v71, v102, v117
	v_fmac_f32_e32 v74, 0x3f5db3d7, v97
	v_add_f32_e32 v97, v71, v113
	v_add_f32_e32 v71, v117, v113
	v_fmac_f32_e32 v102, -0.5, v71
	v_add_f32_e32 v65, v31, v74
	v_sub_f32_e32 v31, v31, v74
	v_sub_f32_e32 v71, v106, v116
	v_mov_b32_e32 v74, v102
	v_fmac_f32_e32 v74, 0x3f5db3d7, v71
	v_fmac_f32_e32 v102, 0xbf5db3d7, v71
	v_add_f32_e32 v71, v99, v106
	v_add_f32_e32 v100, v71, v116
	;; [unrolled: 1-line block ×3, first 2 shown]
	v_mul_f32_e32 v75, 0xbf5db3d7, v64
	v_fmac_f32_e32 v99, -0.5, v71
	v_sub_f32_e32 v71, v117, v113
	v_fmac_f32_e32 v75, 0.5, v66
	v_add_f32_e32 v66, v32, v76
	v_sub_f32_e32 v32, v32, v76
	v_mov_b32_e32 v76, v99
	v_fmac_f32_e32 v99, 0x3f5db3d7, v71
	v_mul_f32_e32 v103, -0.5, v102
	v_fmac_f32_e32 v76, 0xbf5db3d7, v71
	v_fmac_f32_e32 v103, 0x3f5db3d7, v99
	v_mul_f32_e32 v99, -0.5, v99
	v_mul_f32_e32 v101, 0x3f5db3d7, v76
	v_mul_f32_e32 v104, 0xbf5db3d7, v74
	v_fmac_f32_e32 v99, 0xbf5db3d7, v102
	v_fmac_f32_e32 v101, 0.5, v74
	v_fmac_f32_e32 v104, 0.5, v76
	v_add_f32_e32 v76, v7, v99
	v_sub_f32_e32 v7, v7, v99
	v_add_f32_e32 v99, v125, v127
	v_add_f32_e32 v62, v72, v73
	v_sub_f32_e32 v68, v72, v73
	v_add_f32_e32 v71, v77, v97
	v_add_f32_e32 v73, v78, v101
	v_add_f32_e32 v72, v79, v100
	v_sub_f32_e32 v77, v77, v97
	v_sub_f32_e32 v97, v78, v101
	;; [unrolled: 1-line block ×3, first 2 shown]
	v_add_f32_e32 v79, v0, v125
	v_fma_f32 v0, -0.5, v99, v0
	v_sub_f32_e32 v99, v126, v128
	v_mov_b32_e32 v106, v0
	v_fmac_f32_e32 v106, 0x3f5db3d7, v99
	v_fmac_f32_e32 v0, 0xbf5db3d7, v99
	v_add_f32_e32 v99, v1, v126
	v_add_f32_e32 v108, v99, v128
	v_add_f32_e32 v99, v126, v128
	v_fmac_f32_e32 v1, -0.5, v99
	v_sub_f32_e32 v99, v125, v127
	v_mov_b32_e32 v111, v1
	v_fmac_f32_e32 v111, 0xbf5db3d7, v99
	v_fmac_f32_e32 v1, 0x3f5db3d7, v99
	v_add_f32_e32 v99, v115, v109
	v_add_f32_e32 v105, v99, v129
	v_add_f32_e32 v99, v109, v129
	v_fmac_f32_e32 v115, -0.5, v99
	;; [unrolled: 8-line block ×3, first 2 shown]
	v_add_f32_e32 v74, v98, v104
	v_sub_f32_e32 v98, v98, v104
	v_add_f32_e32 v79, v79, v127
	v_sub_f32_e32 v99, v109, v129
	v_mov_b32_e32 v104, v124
	v_fmac_f32_e32 v104, 0xbf5db3d7, v99
	v_fmac_f32_e32 v124, 0x3f5db3d7, v99
	v_add_f32_e32 v99, v79, v105
	v_sub_f32_e32 v105, v79, v105
	v_mov_b32_e32 v79, 3
	v_lshlrev_b32_sdwa v26, v79, v26 dst_sel:DWORD dst_unused:UNUSED_PAD src0_sel:DWORD src1_sel:BYTE_0
	v_add3_u32 v25, 0, v25, v26
	s_waitcnt lgkmcnt(0)
	; wave barrier
	ds_write2_b64 v25, v[4:5], v[29:30] offset1:10
	ds_write2_b64 v25, v[33:34], v[35:36] offset0:20 offset1:30
	ds_write2_b64 v25, v[37:38], v[39:40] offset0:40 offset1:50
	v_mul_u32_u24_e32 v4, 0x1e0, v15
	v_lshlrev_b32_sdwa v5, v79, v16 dst_sel:DWORD dst_unused:UNUSED_PAD src0_sel:DWORD src1_sel:BYTE_0
	v_add3_u32 v4, 0, v4, v5
	ds_write2_b64 v4, v[41:42], v[43:44] offset1:10
	ds_write2_b64 v4, v[45:46], v[47:48] offset0:20 offset1:30
	ds_write2_b64 v4, v[49:50], v[2:3] offset0:40 offset1:50
	v_mul_u32_u24_e32 v2, 0x1e0, v17
	v_lshlrev_b32_sdwa v3, v79, v18 dst_sel:DWORD dst_unused:UNUSED_PAD src0_sel:DWORD src1_sel:BYTE_0
	v_add3_u32 v2, 0, v2, v3
	ds_write2_b64 v2, v[51:52], v[53:54] offset1:10
	ds_write2_b64 v2, v[55:56], v[57:58] offset0:20 offset1:30
	ds_write2_b64 v2, v[59:60], v[27:28] offset0:40 offset1:50
	v_mul_u32_u24_e32 v2, 0x1e0, v19
	v_lshlrev_b32_sdwa v3, v79, v20 dst_sel:DWORD dst_unused:UNUSED_PAD src0_sel:DWORD src1_sel:BYTE_0
	v_add_f32_e32 v64, v70, v75
	v_add3_u32 v2, 0, v2, v3
	v_sub_f32_e32 v70, v70, v75
	ds_write2_b64 v2, v[61:62], v[63:64] offset1:10
	ds_write2_b64 v2, v[65:66], v[67:68] offset0:20 offset1:30
	ds_write2_b64 v2, v[69:70], v[31:32] offset0:40 offset1:50
	v_mul_u32_u24_e32 v2, 0x1e0, v21
	v_lshlrev_b32_e32 v3, 3, v22
	v_mul_f32_e32 v107, 0x3f5db3d7, v104
	v_mul_f32_e32 v109, -0.5, v115
	v_mul_f32_e32 v110, 0xbf5db3d7, v102
	v_add3_u32 v2, 0, v2, v3
	v_add_f32_e32 v75, v6, v103
	v_sub_f32_e32 v6, v6, v103
	v_fmac_f32_e32 v107, 0.5, v102
	v_fmac_f32_e32 v109, 0x3f5db3d7, v124
	v_fmac_f32_e32 v110, 0.5, v104
	v_mul_f32_e32 v113, -0.5, v124
	ds_write2_b64 v2, v[71:72], v[73:74] offset1:10
	ds_write2_b64 v2, v[75:76], v[77:78] offset0:20 offset1:30
	ds_write2_b64 v2, v[97:98], v[6:7] offset0:40 offset1:50
	v_mul_u32_u24_e32 v2, 0x1e0, v23
	v_lshlrev_b32_e32 v3, 3, v24
	v_add_f32_e32 v101, v106, v107
	v_add_f32_e32 v103, v0, v109
	;; [unrolled: 1-line block ×4, first 2 shown]
	v_fmac_f32_e32 v113, 0xbf5db3d7, v115
	v_sub_f32_e32 v0, v0, v109
	v_add3_u32 v2, 0, v2, v3
	v_add_f32_e32 v104, v1, v113
	v_sub_f32_e32 v107, v106, v107
	v_sub_f32_e32 v106, v108, v112
	;; [unrolled: 1-line block ×4, first 2 shown]
	ds_write2_b64 v2, v[99:100], v[101:102] offset1:10
	ds_write2_b64 v2, v[103:104], v[105:106] offset0:20 offset1:30
	ds_write2_b64 v2, v[107:108], v[0:1] offset0:40 offset1:50
	v_mul_lo_u16_sdwa v0, v86, s4 dst_sel:DWORD dst_unused:UNUSED_PAD src0_sel:BYTE_0 src1_sel:DWORD
	v_lshrrev_b16_e32 v0, 13, v0
	v_mul_lo_u16_e32 v0, 60, v0
	v_sub_u16_e32 v0, v86, v0
	v_and_b32_e32 v4, 0xff, v0
	v_mul_u32_u24_e32 v0, 5, v4
	v_mul_u32_u24_sdwa v1, v12, s5 dst_sel:DWORD dst_unused:UNUSED_PAD src0_sel:WORD_0 src1_sel:DWORD
	v_lshlrev_b32_e32 v0, 3, v0
	v_lshrrev_b32_e32 v1, 21, v1
	s_waitcnt lgkmcnt(0)
	; wave barrier
	s_waitcnt lgkmcnt(0)
	global_load_dwordx4 v[16:19], v0, s[8:9] offset:400
	global_load_dwordx4 v[20:23], v0, s[8:9] offset:416
	v_mul_lo_u16_e32 v1, 60, v1
	v_sub_u16_e32 v5, v12, v1
	v_mul_u32_u24_e32 v1, 5, v5
	v_lshlrev_b32_e32 v1, 3, v1
	global_load_dwordx4 v[24:27], v1, s[8:9] offset:400
	global_load_dwordx4 v[28:31], v1, s[8:9] offset:416
	v_mul_u32_u24_e32 v2, 5, v80
	v_lshlrev_b32_e32 v15, 3, v2
	v_mul_lo_u16_sdwa v2, v87, s4 dst_sel:DWORD dst_unused:UNUSED_PAD src0_sel:BYTE_0 src1_sel:DWORD
	v_lshrrev_b16_e32 v2, 13, v2
	global_load_dwordx4 v[32:35], v15, s[8:9] offset:400
	v_mul_lo_u16_e32 v2, 60, v2
	v_sub_u16_e32 v2, v87, v2
	v_and_b32_e32 v6, 0xff, v2
	v_mul_u32_u24_e32 v2, 5, v6
	v_lshlrev_b32_e32 v7, 3, v2
	global_load_dwordx4 v[36:39], v7, s[8:9] offset:400
	global_load_dwordx2 v[109:110], v15, s[8:9] offset:432
	global_load_dwordx4 v[40:43], v15, s[8:9] offset:416
	global_load_dwordx2 v[111:112], v0, s[8:9] offset:432
	global_load_dwordx2 v[113:114], v1, s[8:9] offset:432
	ds_read2_b64 v[44:47], v89 offset1:240
	ds_read2_b64 v[0:3], v93 offset0:44 offset1:104
	ds_read2_b64 v[48:51], v90 offset0:148 offset1:208
	;; [unrolled: 1-line block ×4, first 2 shown]
	global_load_dwordx2 v[115:116], v7, s[8:9] offset:432
	global_load_dwordx4 v[60:63], v7, s[8:9] offset:416
	ds_read2_b64 v[64:67], v14 offset0:76 offset1:136
	ds_read2_b64 v[68:71], v93 offset0:164 offset1:224
	ds_read2_b64 v[72:75], v90 offset0:28 offset1:88
	ds_read2_b64 v[76:79], v81 offset0:12 offset1:72
	ds_read2_b64 v[97:100], v81 offset0:132 offset1:192
	ds_read2_b64 v[101:104], v13 offset0:108 offset1:168
	ds_read2_b64 v[105:108], v88 offset0:84 offset1:144
	s_movk_i32 s4, 0x1450
	s_waitcnt vmcnt(11) lgkmcnt(4)
	v_mul_f32_e32 v7, v73, v17
	v_fma_f32 v117, v72, v16, -v7
	v_mul_f32_e32 v72, v72, v17
	s_waitcnt lgkmcnt(2)
	v_mul_f32_e32 v7, v98, v19
	v_fmac_f32_e32 v72, v73, v16
	v_fma_f32 v73, v97, v18, -v7
	v_mul_f32_e32 v97, v97, v19
	s_waitcnt vmcnt(10) lgkmcnt(1)
	v_mul_f32_e32 v7, v102, v21
	v_fmac_f32_e32 v97, v98, v18
	v_fma_f32 v98, v101, v20, -v7
	v_mul_f32_e32 v101, v101, v21
	s_waitcnt lgkmcnt(0)
	v_mul_f32_e32 v7, v106, v23
	v_fmac_f32_e32 v101, v102, v20
	v_fma_f32 v102, v105, v22, -v7
	v_mul_f32_e32 v105, v105, v23
	s_waitcnt vmcnt(9)
	v_mul_f32_e32 v7, v75, v25
	v_fmac_f32_e32 v105, v106, v22
	v_fma_f32 v106, v74, v24, -v7
	v_mul_f32_e32 v74, v74, v25
	v_mul_f32_e32 v7, v100, v27
	v_fmac_f32_e32 v74, v75, v24
	v_fma_f32 v75, v99, v26, -v7
	v_mul_f32_e32 v99, v99, v27
	s_waitcnt vmcnt(8)
	v_mul_f32_e32 v7, v104, v29
	v_fmac_f32_e32 v99, v100, v26
	v_fma_f32 v100, v103, v28, -v7
	v_mul_u32_u24_sdwa v7, v8, s5 dst_sel:DWORD dst_unused:UNUSED_PAD src0_sel:WORD_0 src1_sel:DWORD
	v_lshrrev_b32_e32 v7, 21, v7
	v_mul_lo_u16_e32 v7, 60, v7
	v_sub_u16_e32 v7, v8, v7
	v_mul_u32_u24_e32 v8, 5, v7
	v_mul_f32_e32 v103, v103, v29
	v_lshlrev_b32_e32 v8, 3, v8
	ds_read2_b64 v[16:19], v94 offset0:116 offset1:176
	v_fmac_f32_e32 v103, v104, v28
	v_mul_f32_e32 v28, v108, v31
	global_load_dwordx4 v[20:23], v8, s[8:9] offset:416
	global_load_dwordx4 v[24:27], v8, s[8:9] offset:400
	v_fma_f32 v104, v107, v30, -v28
	v_mul_f32_e32 v107, v107, v31
	v_fmac_f32_e32 v107, v108, v30
	s_waitcnt vmcnt(9)
	v_mul_f32_e32 v108, v69, v33
	v_fma_f32 v108, v68, v32, -v108
	v_mul_f32_e32 v118, v68, v33
	s_waitcnt vmcnt(8)
	v_mul_f32_e32 v68, v71, v37
	v_fmac_f32_e32 v118, v69, v32
	v_fma_f32 v119, v70, v36, -v68
	global_load_dwordx2 v[68:69], v8, s[8:9] offset:432
	v_mul_f32_e32 v8, v77, v35
	v_fma_f32 v8, v76, v34, -v8
	v_mul_f32_e32 v76, v76, v35
	ds_read2_b64 v[28:31], v95 offset0:92 offset1:152
	v_fmac_f32_e32 v76, v77, v34
	v_mul_f32_e32 v77, v33, v3
	v_mul_f32_e32 v70, v70, v37
	v_fma_f32 v77, v32, v2, -v77
	v_mul_f32_e32 v33, v33, v2
	v_mul_f32_e32 v2, v35, v51
	v_fmac_f32_e32 v70, v71, v36
	v_mul_f32_e32 v36, v79, v39
	v_fmac_f32_e32 v33, v32, v3
	v_fma_f32 v32, v34, v50, -v2
	v_mul_f32_e32 v35, v35, v50
	s_waitcnt vmcnt(7) lgkmcnt(1)
	v_mul_f32_e32 v2, v17, v41
	v_fma_f32 v71, v78, v38, -v36
	v_mul_f32_e32 v78, v78, v39
	v_fmac_f32_e32 v35, v34, v51
	v_fma_f32 v34, v16, v40, -v2
	v_mul_f32_e32 v50, v16, v41
	s_waitcnt vmcnt(3)
	v_mul_f32_e32 v2, v19, v61
	v_mul_f32_e32 v61, v18, v61
	v_fmac_f32_e32 v78, v79, v38
	ds_read2_b64 v[36:39], v92 offset0:68 offset1:128
	v_fmac_f32_e32 v50, v17, v40
	v_fma_f32 v51, v18, v60, -v2
	v_fmac_f32_e32 v61, v19, v60
	ds_read2_b64 v[16:19], v92 offset0:188 offset1:248
	s_waitcnt lgkmcnt(2)
	v_mul_f32_e32 v2, v31, v63
	v_fma_f32 v60, v30, v62, -v2
	v_mul_f32_e32 v63, v30, v63
	v_mul_f32_e32 v2, v29, v43
	v_fmac_f32_e32 v63, v31, v62
	v_fma_f32 v62, v28, v42, -v2
	v_mul_f32_e32 v2, v55, v41
	v_fma_f32 v30, v54, v40, -v2
	v_mul_f32_e32 v31, v54, v41
	v_mul_f32_e32 v2, v59, v43
	;; [unrolled: 1-line block ×3, first 2 shown]
	v_fmac_f32_e32 v31, v55, v40
	v_fma_f32 v40, v58, v42, -v2
	v_mul_f32_e32 v41, v58, v43
	s_waitcnt lgkmcnt(0)
	v_mul_f32_e32 v2, v17, v112
	v_mul_f32_e32 v28, v39, v116
	v_fmac_f32_e32 v79, v29, v42
	v_fmac_f32_e32 v41, v59, v42
	v_fma_f32 v54, v16, v111, -v2
	v_mul_f32_e32 v55, v16, v112
	v_mul_f32_e32 v2, v19, v114
	;; [unrolled: 1-line block ×3, first 2 shown]
	v_fma_f32 v42, v38, v115, -v28
	v_mul_f32_e32 v28, v37, v110
	v_fmac_f32_e32 v55, v17, v111
	v_fma_f32 v111, v18, v113, -v2
	v_fmac_f32_e32 v112, v19, v113
	ds_read_b64 v[2:3], v11
	ds_read_b64 v[16:17], v10
	;; [unrolled: 1-line block ×3, first 2 shown]
	v_mul_f32_e32 v43, v38, v116
	v_fma_f32 v38, v36, v109, -v28
	v_mul_f32_e32 v36, v36, v110
	ds_read_b64 v[28:29], v89 offset:16800
	v_fmac_f32_e32 v43, v39, v115
	v_fmac_f32_e32 v36, v37, v109
	v_mul_f32_e32 v37, v67, v110
	v_mul_f32_e32 v39, v66, v110
	v_fma_f32 v37, v66, v109, -v37
	v_fmac_f32_e32 v39, v67, v109
	s_waitcnt vmcnt(2) lgkmcnt(0)
	v_mul_f32_e32 v116, v56, v21
	s_waitcnt vmcnt(1)
	v_mul_f32_e32 v58, v49, v25
	v_mul_f32_e32 v110, v48, v25
	v_fma_f32 v109, v48, v24, -v58
	v_fmac_f32_e32 v110, v49, v24
	v_mul_f32_e32 v24, v53, v27
	v_fma_f32 v113, v52, v26, -v24
	v_mul_f32_e32 v24, v57, v21
	v_fma_f32 v115, v56, v20, -v24
	v_fmac_f32_e32 v116, v57, v20
	v_mul_f32_e32 v20, v65, v23
	v_fma_f32 v120, v64, v22, -v20
	s_waitcnt vmcnt(0)
	v_mul_f32_e32 v20, v29, v69
	v_mul_f32_e32 v114, v52, v27
	v_fma_f32 v122, v28, v68, -v20
	v_add_f32_e32 v20, v44, v32
	v_fmac_f32_e32 v114, v53, v26
	v_add_f32_e32 v26, v20, v40
	v_add_f32_e32 v20, v32, v40
	v_fma_f32 v27, -0.5, v20, v44
	v_mul_f32_e32 v123, v28, v69
	v_sub_f32_e32 v20, v35, v41
	v_mov_b32_e32 v28, v27
	v_fmac_f32_e32 v28, 0x3f5db3d7, v20
	v_fmac_f32_e32 v27, 0xbf5db3d7, v20
	v_add_f32_e32 v20, v45, v35
	v_fmac_f32_e32 v123, v29, v68
	v_add_f32_e32 v29, v20, v41
	v_add_f32_e32 v20, v35, v41
	v_fma_f32 v35, -0.5, v20, v45
	v_sub_f32_e32 v20, v32, v40
	v_mov_b32_e32 v32, v35
	v_fmac_f32_e32 v32, 0xbf5db3d7, v20
	v_fmac_f32_e32 v35, 0x3f5db3d7, v20
	v_add_f32_e32 v20, v77, v30
	v_add_f32_e32 v40, v20, v37
	;; [unrolled: 1-line block ×3, first 2 shown]
	v_fmac_f32_e32 v77, -0.5, v20
	v_mul_f32_e32 v121, v64, v23
	v_sub_f32_e32 v20, v31, v39
	v_mov_b32_e32 v23, v77
	v_fmac_f32_e32 v23, 0x3f5db3d7, v20
	v_fmac_f32_e32 v77, 0xbf5db3d7, v20
	v_add_f32_e32 v20, v33, v31
	v_add_f32_e32 v41, v20, v39
	;; [unrolled: 1-line block ×3, first 2 shown]
	v_fmac_f32_e32 v33, -0.5, v20
	v_sub_f32_e32 v20, v30, v37
	v_mov_b32_e32 v25, v33
	v_fmac_f32_e32 v25, 0xbf5db3d7, v20
	v_fmac_f32_e32 v33, 0x3f5db3d7, v20
	v_mul_f32_e32 v30, 0x3f5db3d7, v25
	v_mul_f32_e32 v31, -0.5, v77
	v_mul_f32_e32 v37, 0xbf5db3d7, v23
	v_fmac_f32_e32 v30, 0.5, v23
	v_fmac_f32_e32 v31, 0x3f5db3d7, v33
	v_fmac_f32_e32 v37, 0.5, v25
	v_fmac_f32_e32 v121, v65, v22
	v_add_f32_e32 v22, v28, v30
	v_add_f32_e32 v24, v27, v31
	;; [unrolled: 1-line block ×4, first 2 shown]
	v_sub_f32_e32 v28, v28, v30
	v_sub_f32_e32 v30, v27, v31
	;; [unrolled: 1-line block ×4, first 2 shown]
	v_add_f32_e32 v32, v2, v8
	v_add_f32_e32 v39, v32, v62
	;; [unrolled: 1-line block ×3, first 2 shown]
	v_fma_f32 v2, -0.5, v32, v2
	v_add_f32_e32 v20, v26, v40
	v_sub_f32_e32 v26, v26, v40
	v_sub_f32_e32 v32, v76, v79
	v_mov_b32_e32 v40, v2
	v_fmac_f32_e32 v40, 0x3f5db3d7, v32
	v_fmac_f32_e32 v2, 0xbf5db3d7, v32
	v_add_f32_e32 v32, v3, v76
	v_add_f32_e32 v41, v32, v79
	;; [unrolled: 1-line block ×3, first 2 shown]
	v_fmac_f32_e32 v3, -0.5, v32
	v_mul_f32_e32 v33, -0.5, v33
	v_sub_f32_e32 v8, v8, v62
	v_mov_b32_e32 v44, v3
	v_add_f32_e32 v32, v34, v38
	v_fmac_f32_e32 v33, 0xbf5db3d7, v77
	v_fmac_f32_e32 v44, 0xbf5db3d7, v8
	;; [unrolled: 1-line block ×3, first 2 shown]
	v_add_f32_e32 v8, v108, v34
	v_fmac_f32_e32 v108, -0.5, v32
	v_add_f32_e32 v25, v35, v33
	v_sub_f32_e32 v31, v35, v33
	v_sub_f32_e32 v32, v50, v36
	v_mov_b32_e32 v35, v108
	v_fmac_f32_e32 v35, 0x3f5db3d7, v32
	v_fmac_f32_e32 v108, 0xbf5db3d7, v32
	v_add_f32_e32 v32, v118, v50
	v_add_f32_e32 v45, v32, v36
	;; [unrolled: 1-line block ×3, first 2 shown]
	v_fmac_f32_e32 v118, -0.5, v32
	v_sub_f32_e32 v32, v34, v38
	v_mov_b32_e32 v37, v118
	v_fmac_f32_e32 v37, 0xbf5db3d7, v32
	v_mul_f32_e32 v50, 0xbf5db3d7, v35
	v_add_f32_e32 v8, v8, v38
	v_fmac_f32_e32 v118, 0x3f5db3d7, v32
	v_mul_f32_e32 v48, 0x3f5db3d7, v37
	v_fmac_f32_e32 v50, 0.5, v37
	v_add_f32_e32 v32, v39, v8
	v_fmac_f32_e32 v48, 0.5, v35
	v_add_f32_e32 v33, v41, v45
	v_add_f32_e32 v35, v44, v50
	v_mul_f32_e32 v52, -0.5, v118
	v_sub_f32_e32 v38, v39, v8
	v_sub_f32_e32 v39, v41, v45
	;; [unrolled: 1-line block ×3, first 2 shown]
	v_add_f32_e32 v44, v71, v60
	v_fmac_f32_e32 v52, 0xbf5db3d7, v108
	v_add_f32_e32 v8, v16, v71
	v_fma_f32 v16, -0.5, v44, v16
	v_add_f32_e32 v37, v3, v52
	v_sub_f32_e32 v3, v3, v52
	v_sub_f32_e32 v44, v78, v63
	v_mov_b32_e32 v52, v16
	v_fmac_f32_e32 v52, 0x3f5db3d7, v44
	v_fmac_f32_e32 v16, 0xbf5db3d7, v44
	v_add_f32_e32 v44, v17, v78
	v_add_f32_e32 v53, v44, v63
	;; [unrolled: 1-line block ×3, first 2 shown]
	v_fmac_f32_e32 v17, -0.5, v44
	v_sub_f32_e32 v44, v71, v60
	v_mov_b32_e32 v56, v17
	v_fmac_f32_e32 v56, 0xbf5db3d7, v44
	v_fmac_f32_e32 v17, 0x3f5db3d7, v44
	v_add_f32_e32 v44, v119, v51
	v_add_f32_e32 v50, v44, v42
	;; [unrolled: 1-line block ×3, first 2 shown]
	v_fmac_f32_e32 v119, -0.5, v44
	v_sub_f32_e32 v44, v61, v43
	v_mov_b32_e32 v45, v119
	v_fmac_f32_e32 v45, 0x3f5db3d7, v44
	v_fmac_f32_e32 v119, 0xbf5db3d7, v44
	v_add_f32_e32 v44, v70, v61
	v_mul_f32_e32 v49, -0.5, v108
	v_add_f32_e32 v57, v44, v43
	v_add_f32_e32 v43, v61, v43
	v_fmac_f32_e32 v49, 0x3f5db3d7, v118
	v_fmac_f32_e32 v70, -0.5, v43
	v_add_f32_e32 v36, v2, v49
	v_sub_f32_e32 v2, v2, v49
	v_sub_f32_e32 v42, v51, v42
	v_mov_b32_e32 v49, v70
	v_fmac_f32_e32 v49, 0xbf5db3d7, v42
	v_mul_f32_e32 v51, 0x3f5db3d7, v49
	v_mul_f32_e32 v59, 0xbf5db3d7, v45
	v_fmac_f32_e32 v51, 0.5, v45
	v_fmac_f32_e32 v59, 0.5, v49
	v_add_f32_e32 v8, v8, v60
	v_add_f32_e32 v44, v52, v51
	;; [unrolled: 1-line block ×4, first 2 shown]
	v_sub_f32_e32 v52, v52, v51
	v_sub_f32_e32 v51, v53, v57
	;; [unrolled: 1-line block ×3, first 2 shown]
	v_add_f32_e32 v56, v73, v102
	v_fmac_f32_e32 v70, 0x3f5db3d7, v42
	v_add_f32_e32 v42, v8, v50
	v_sub_f32_e32 v50, v8, v50
	v_add_f32_e32 v8, v18, v73
	v_fma_f32 v18, -0.5, v56, v18
	v_sub_f32_e32 v56, v97, v105
	v_mov_b32_e32 v61, v18
	v_fmac_f32_e32 v61, 0x3f5db3d7, v56
	v_fmac_f32_e32 v18, 0xbf5db3d7, v56
	v_add_f32_e32 v56, v19, v97
	v_add_f32_e32 v63, v56, v105
	;; [unrolled: 1-line block ×3, first 2 shown]
	v_fmac_f32_e32 v19, -0.5, v56
	v_mul_f32_e32 v60, -0.5, v70
	v_sub_f32_e32 v56, v73, v102
	v_mov_b32_e32 v64, v19
	v_fmac_f32_e32 v60, 0xbf5db3d7, v119
	v_fmac_f32_e32 v64, 0xbf5db3d7, v56
	;; [unrolled: 1-line block ×3, first 2 shown]
	v_add_f32_e32 v56, v117, v98
	v_add_f32_e32 v49, v17, v60
	v_sub_f32_e32 v17, v17, v60
	v_add_f32_e32 v60, v56, v54
	v_add_f32_e32 v56, v98, v54
	v_fmac_f32_e32 v117, -0.5, v56
	v_sub_f32_e32 v56, v101, v55
	v_mov_b32_e32 v57, v117
	v_fmac_f32_e32 v57, 0x3f5db3d7, v56
	v_fmac_f32_e32 v117, 0xbf5db3d7, v56
	v_add_f32_e32 v56, v72, v101
	v_add_f32_e32 v65, v56, v55
	;; [unrolled: 1-line block ×3, first 2 shown]
	v_fmac_f32_e32 v72, -0.5, v55
	v_sub_f32_e32 v54, v98, v54
	v_mov_b32_e32 v59, v72
	v_fmac_f32_e32 v59, 0xbf5db3d7, v54
	v_mul_f32_e32 v62, 0x3f5db3d7, v59
	v_mul_f32_e32 v67, 0xbf5db3d7, v57
	v_fmac_f32_e32 v62, 0.5, v57
	v_fmac_f32_e32 v67, 0.5, v59
	v_add_f32_e32 v8, v8, v102
	v_add_f32_e32 v56, v61, v62
	;; [unrolled: 1-line block ×4, first 2 shown]
	v_sub_f32_e32 v62, v61, v62
	v_sub_f32_e32 v61, v63, v65
	;; [unrolled: 1-line block ×3, first 2 shown]
	v_add_f32_e32 v64, v75, v104
	v_fmac_f32_e32 v72, 0x3f5db3d7, v54
	v_add_f32_e32 v54, v8, v60
	v_sub_f32_e32 v60, v8, v60
	v_add_f32_e32 v8, v46, v75
	v_fma_f32 v46, -0.5, v64, v46
	v_sub_f32_e32 v64, v99, v107
	v_mov_b32_e32 v71, v46
	v_fmac_f32_e32 v71, 0x3f5db3d7, v64
	v_fmac_f32_e32 v46, 0xbf5db3d7, v64
	v_add_f32_e32 v64, v47, v99
	v_add_f32_e32 v73, v64, v107
	;; [unrolled: 1-line block ×3, first 2 shown]
	v_fmac_f32_e32 v47, -0.5, v64
	v_sub_f32_e32 v64, v75, v104
	v_mov_b32_e32 v75, v47
	v_mul_f32_e32 v58, -0.5, v119
	v_fmac_f32_e32 v75, 0xbf5db3d7, v64
	v_fmac_f32_e32 v47, 0x3f5db3d7, v64
	v_add_f32_e32 v64, v106, v100
	v_fmac_f32_e32 v58, 0x3f5db3d7, v70
	v_add_f32_e32 v70, v64, v111
	v_add_f32_e32 v64, v100, v111
	v_fmac_f32_e32 v106, -0.5, v64
	v_sub_f32_e32 v64, v103, v112
	v_mov_b32_e32 v67, v106
	v_fmac_f32_e32 v67, 0x3f5db3d7, v64
	v_fmac_f32_e32 v106, 0xbf5db3d7, v64
	v_add_f32_e32 v64, v74, v103
	v_add_f32_e32 v76, v64, v112
	;; [unrolled: 1-line block ×3, first 2 shown]
	v_fmac_f32_e32 v74, -0.5, v64
	v_sub_f32_e32 v64, v100, v111
	v_mov_b32_e32 v69, v74
	v_fmac_f32_e32 v74, 0x3f5db3d7, v64
	v_mul_f32_e32 v77, -0.5, v106
	v_fmac_f32_e32 v77, 0x3f5db3d7, v74
	v_mul_f32_e32 v74, -0.5, v74
	v_mul_f32_e32 v66, -0.5, v117
	v_fmac_f32_e32 v69, 0xbf5db3d7, v64
	v_mul_f32_e32 v78, 0xbf5db3d7, v67
	v_fmac_f32_e32 v74, 0xbf5db3d7, v106
	v_fmac_f32_e32 v66, 0x3f5db3d7, v72
	v_mul_f32_e32 v68, -0.5, v72
	v_add_f32_e32 v8, v8, v104
	v_mul_f32_e32 v72, 0x3f5db3d7, v69
	v_fmac_f32_e32 v78, 0.5, v69
	v_add_f32_e32 v69, v47, v74
	v_sub_f32_e32 v47, v47, v74
	v_add_f32_e32 v74, v113, v120
	v_add_f32_e32 v64, v8, v70
	v_sub_f32_e32 v70, v8, v70
	v_add_f32_e32 v8, v0, v113
	v_fma_f32 v0, -0.5, v74, v0
	v_sub_f32_e32 v74, v114, v121
	v_mov_b32_e32 v98, v0
	v_fmac_f32_e32 v98, 0x3f5db3d7, v74
	v_fmac_f32_e32 v0, 0xbf5db3d7, v74
	v_add_f32_e32 v74, v1, v114
	v_add_f32_e32 v100, v74, v121
	;; [unrolled: 1-line block ×3, first 2 shown]
	v_fmac_f32_e32 v1, -0.5, v74
	v_sub_f32_e32 v74, v113, v120
	v_mov_b32_e32 v101, v1
	v_fmac_f32_e32 v101, 0xbf5db3d7, v74
	v_fmac_f32_e32 v1, 0x3f5db3d7, v74
	v_add_f32_e32 v74, v109, v115
	v_add_f32_e32 v97, v74, v122
	;; [unrolled: 1-line block ×3, first 2 shown]
	v_fmac_f32_e32 v68, 0xbf5db3d7, v117
	v_fmac_f32_e32 v109, -0.5, v74
	v_add_f32_e32 v59, v19, v68
	v_sub_f32_e32 v19, v19, v68
	v_add_f32_e32 v68, v46, v77
	v_sub_f32_e32 v46, v46, v77
	v_sub_f32_e32 v74, v116, v123
	v_mov_b32_e32 v77, v109
	v_fmac_f32_e32 v77, 0x3f5db3d7, v74
	v_fmac_f32_e32 v109, 0xbf5db3d7, v74
	v_add_f32_e32 v74, v110, v116
	v_add_f32_e32 v102, v74, v123
	v_add_f32_e32 v74, v116, v123
	v_fmac_f32_e32 v110, -0.5, v74
	v_add_f32_e32 v8, v8, v120
	v_sub_f32_e32 v74, v115, v122
	v_mov_b32_e32 v79, v110
	v_fmac_f32_e32 v79, 0xbf5db3d7, v74
	v_fmac_f32_e32 v110, 0x3f5db3d7, v74
	v_add_f32_e32 v74, v8, v97
	v_sub_f32_e32 v97, v8, v97
	v_add_u32_e32 v8, 0xc00, v89
	v_add_f32_e32 v34, v40, v48
	v_sub_f32_e32 v40, v40, v48
	; wave barrier
	ds_write2_b64 v89, v[20:21], v[22:23] offset1:60
	ds_write2_b64 v89, v[24:25], v[26:27] offset0:120 offset1:180
	ds_write2_b64 v91, v[28:29], v[30:31] offset0:112 offset1:172
	;; [unrolled: 1-line block ×5, first 2 shown]
	v_lshl_add_u32 v2, v6, 3, 0
	v_add_f32_e32 v48, v16, v58
	v_add_u32_e32 v3, 0x1400, v2
	v_add_u32_e32 v2, 0x1800, v2
	v_sub_f32_e32 v16, v16, v58
	ds_write2_b64 v3, v[42:43], v[44:45] offset0:80 offset1:140
	ds_write2_b64 v2, v[48:49], v[50:51] offset0:72 offset1:132
	;; [unrolled: 1-line block ×3, first 2 shown]
	v_lshl_add_u32 v2, v4, 3, 0
	v_add_f32_e32 v58, v18, v66
	v_sub_f32_e32 v18, v18, v66
	v_add_u32_e32 v3, 0x2000, v2
	v_add_u32_e32 v2, 0x2800, v2
	v_fmac_f32_e32 v72, 0.5, v67
	ds_write2_b64 v3, v[54:55], v[56:57] offset0:56 offset1:116
	ds_write2_b64 v3, v[58:59], v[60:61] offset0:176 offset1:236
	;; [unrolled: 1-line block ×3, first 2 shown]
	v_lshl_add_u32 v2, v5, 3, 0
	v_add_f32_e32 v66, v71, v72
	v_add_f32_e32 v65, v73, v76
	;; [unrolled: 1-line block ×3, first 2 shown]
	v_sub_f32_e32 v72, v71, v72
	v_sub_f32_e32 v71, v73, v76
	v_mul_f32_e32 v99, 0x3f5db3d7, v79
	v_mul_f32_e32 v103, -0.5, v109
	v_mul_f32_e32 v104, 0xbf5db3d7, v77
	v_mul_f32_e32 v105, -0.5, v110
	v_add_u32_e32 v3, 0x2800, v2
	v_add_u32_e32 v2, 0x3000, v2
	v_sub_f32_e32 v73, v75, v78
	v_fmac_f32_e32 v99, 0.5, v77
	v_fmac_f32_e32 v103, 0x3f5db3d7, v110
	v_fmac_f32_e32 v104, 0.5, v79
	v_fmac_f32_e32 v105, 0xbf5db3d7, v109
	ds_write2_b64 v3, v[64:65], v[66:67] offset0:160 offset1:220
	ds_write2_b64 v2, v[68:69], v[70:71] offset0:24 offset1:84
	ds_write2_b64 v2, v[72:73], v[46:47] offset0:144 offset1:204
	v_lshl_add_u32 v2, v7, 3, 0
	v_add_f32_e32 v76, v98, v99
	v_add_f32_e32 v78, v0, v103
	v_add_f32_e32 v75, v100, v102
	v_add_f32_e32 v77, v101, v104
	v_add_f32_e32 v79, v1, v105
	v_sub_f32_e32 v99, v98, v99
	v_sub_f32_e32 v0, v0, v103
	;; [unrolled: 1-line block ×5, first 2 shown]
	v_add_u32_e32 v3, 0x3800, v2
	v_add_u32_e32 v2, 0x3c00, v2
	v_mul_i32_i24_e32 v7, 5, v82
	v_mov_b32_e32 v8, 0
	ds_write2_b64 v3, v[74:75], v[76:77] offset0:8 offset1:68
	ds_write2_b64 v3, v[78:79], v[97:98] offset0:128 offset1:188
	;; [unrolled: 1-line block ×3, first 2 shown]
	v_lshlrev_b64 v[0:1], 3, v[7:8]
	v_mov_b32_e32 v113, s9
	v_add_co_u32_e32 v0, vcc, s8, v0
	v_addc_co_u32_e32 v1, vcc, v113, v1, vcc
	s_waitcnt lgkmcnt(0)
	; wave barrier
	s_waitcnt lgkmcnt(0)
	global_load_dwordx4 v[16:19], v[0:1], off offset:2800
	global_load_dwordx4 v[20:23], v[0:1], off offset:2816
	v_mul_i32_i24_e32 v7, 5, v87
	v_lshlrev_b64 v[2:3], 3, v[7:8]
	v_mul_i32_i24_e32 v7, 5, v86
	v_add_co_u32_e32 v2, vcc, s8, v2
	v_lshlrev_b64 v[4:5], 3, v[7:8]
	v_addc_co_u32_e32 v3, vcc, v113, v3, vcc
	global_load_dwordx4 v[24:27], v[2:3], off offset:2800
	global_load_dwordx4 v[28:31], v[2:3], off offset:2816
	v_add_co_u32_e32 v105, vcc, s8, v4
	v_addc_co_u32_e32 v106, vcc, v113, v5, vcc
	global_load_dwordx4 v[32:35], v[105:106], off offset:2800
	v_mul_u32_u24_e32 v4, 5, v12
	v_lshlrev_b32_e32 v12, 3, v4
	global_load_dwordx4 v[36:39], v12, s[8:9] offset:2800
	global_load_dwordx2 v[107:108], v15, s[8:9] offset:2832
	global_load_dwordx2 v[109:110], v[0:1], off offset:2832
	global_load_dwordx2 v[111:112], v[2:3], off offset:2832
	global_load_dwordx4 v[40:43], v12, s[8:9] offset:2816
	ds_read2_b64 v[4:7], v89 offset1:240
	ds_read2_b64 v[0:3], v93 offset0:44 offset1:104
	ds_read2_b64 v[44:47], v90 offset0:148 offset1:208
	;; [unrolled: 1-line block ×4, first 2 shown]
	global_load_dwordx4 v[56:59], v15, s[8:9] offset:2816
	global_load_dwordx4 v[60:63], v15, s[8:9] offset:2800
	ds_read2_b64 v[64:67], v14 offset0:76 offset1:136
	ds_read2_b64 v[68:71], v93 offset0:164 offset1:224
	;; [unrolled: 1-line block ×7, first 2 shown]
	s_waitcnt vmcnt(11) lgkmcnt(5)
	v_mul_f32_e32 v14, v69, v17
	v_fma_f32 v114, v68, v16, -v14
	s_waitcnt lgkmcnt(4)
	v_mul_f32_e32 v14, v73, v19
	v_fma_f32 v116, v72, v18, -v14
	s_waitcnt vmcnt(10) lgkmcnt(3)
	v_mul_f32_e32 v14, v77, v21
	v_mul_f32_e32 v115, v68, v17
	v_fma_f32 v118, v76, v20, -v14
	v_mul_f32_e32 v76, v76, v21
	s_waitcnt lgkmcnt(2)
	v_mul_f32_e32 v14, v94, v23
	v_fmac_f32_e32 v115, v69, v16
	v_fmac_f32_e32 v76, v77, v20
	v_fma_f32 v77, v93, v22, -v14
	global_load_dwordx2 v[68:69], v[105:106], off offset:2832
	global_load_dwordx4 v[14:17], v[105:106], off offset:2816
	v_mul_f32_e32 v93, v93, v23
	v_fmac_f32_e32 v93, v94, v22
	s_waitcnt vmcnt(11)
	v_mul_f32_e32 v22, v75, v27
	v_fma_f32 v106, v74, v26, -v22
	v_mul_f32_e32 v119, v74, v27
	s_waitcnt vmcnt(10)
	v_mul_f32_e32 v22, v79, v29
	v_mul_f32_e32 v117, v72, v19
	v_fmac_f32_e32 v119, v75, v26
	v_fma_f32 v120, v78, v28, -v22
	v_mul_f32_e32 v78, v78, v29
	v_mul_f32_e32 v22, v96, v31
	v_add_co_u32_e32 v26, vcc, s8, v12
	v_fmac_f32_e32 v117, v73, v18
	v_mul_f32_e32 v18, v71, v25
	v_fmac_f32_e32 v78, v79, v28
	v_fma_f32 v79, v95, v30, -v22
	v_mul_f32_e32 v95, v95, v31
	s_waitcnt vmcnt(9) lgkmcnt(0)
	v_mul_f32_e32 v22, v102, v33
	v_addc_co_u32_e32 v27, vcc, 0, v113, vcc
	v_fma_f32 v94, v70, v24, -v18
	v_mul_f32_e32 v105, v70, v25
	ds_read2_b64 v[18:21], v81 offset0:132 offset1:192
	v_fmac_f32_e32 v95, v96, v30
	v_fma_f32 v96, v101, v32, -v22
	v_add_co_u32_e32 v22, vcc, s6, v26
	v_fmac_f32_e32 v105, v71, v24
	global_load_dwordx2 v[70:71], v12, s[8:9] offset:2832
	v_addc_co_u32_e32 v23, vcc, 0, v27, vcc
	global_load_dwordx4 v[22:25], v[22:23], off offset:1104
	v_add_co_u32_e32 v30, vcc, s4, v26
	v_addc_co_u32_e32 v31, vcc, 0, v27, vcc
	global_load_dwordx4 v[26:29], v[30:31], off offset:16
	v_mul_f32_e32 v101, v101, v33
	s_waitcnt lgkmcnt(0)
	v_mul_f32_e32 v12, v19, v35
	v_mul_f32_e32 v113, v18, v35
	v_fmac_f32_e32 v101, v102, v32
	v_fma_f32 v102, v18, v34, -v12
	v_fmac_f32_e32 v113, v19, v34
	global_load_dwordx2 v[34:35], v[30:31], off offset:32
	s_waitcnt vmcnt(12)
	v_mul_f32_e32 v12, v104, v37
	v_fma_f32 v121, v103, v36, -v12
	v_mul_f32_e32 v103, v103, v37
	v_mul_f32_e32 v12, v21, v39
	v_fmac_f32_e32 v103, v104, v36
	v_fma_f32 v104, v20, v38, -v12
	v_mul_f32_e32 v122, v20, v39
	s_waitcnt vmcnt(6)
	v_mul_f32_e32 v12, v61, v3
	ds_read_b64 v[36:37], v11
	ds_read_b64 v[72:73], v10
	;; [unrolled: 1-line block ×3, first 2 shown]
	v_fmac_f32_e32 v122, v21, v38
	ds_read2_b64 v[18:21], v13 offset0:108 offset1:168
	v_fma_f32 v38, v60, v2, -v12
	v_mul_f32_e32 v39, v61, v2
	v_mul_f32_e32 v2, v63, v47
	v_fmac_f32_e32 v39, v60, v3
	v_fma_f32 v60, v62, v46, -v2
	v_mul_f32_e32 v46, v63, v46
	v_mul_f32_e32 v2, v51, v57
	v_fmac_f32_e32 v46, v62, v47
	;; [unrolled: 4-line block ×4, first 2 shown]
	v_fma_f32 v55, v97, v109, -v2
	v_mul_f32_e32 v2, v100, v112
	ds_read2_b64 v[30:33], v88 offset0:84 offset1:144
	v_fma_f32 v57, v99, v111, -v2
	v_mul_f32_e32 v56, v97, v110
	v_fmac_f32_e32 v56, v98, v109
	v_mul_f32_e32 v58, v99, v112
	s_waitcnt vmcnt(4) lgkmcnt(1)
	v_mul_f32_e32 v2, v19, v15
	v_mul_f32_e32 v61, v18, v15
	v_fma_f32 v59, v18, v14, -v2
	v_fmac_f32_e32 v61, v19, v14
	ds_read2_b64 v[12:15], v92 offset0:188 offset1:248
	s_waitcnt lgkmcnt(1)
	v_mul_f32_e32 v2, v31, v17
	v_mul_f32_e32 v63, v30, v17
	v_fma_f32 v62, v30, v16, -v2
	v_fmac_f32_e32 v63, v31, v16
	v_mul_f32_e32 v16, v67, v108
	v_mul_f32_e32 v17, v66, v108
	s_waitcnt lgkmcnt(0)
	v_mul_f32_e32 v18, v13, v69
	v_mul_f32_e32 v2, v21, v41
	v_fma_f32 v16, v66, v107, -v16
	v_fmac_f32_e32 v17, v67, v107
	v_fma_f32 v66, v12, v68, -v18
	v_mul_f32_e32 v67, v12, v69
	v_mul_f32_e32 v12, v33, v43
	v_fma_f32 v92, v20, v40, -v2
	ds_read_b64 v[2:3], v89 offset:16800
	v_fmac_f32_e32 v67, v13, v68
	v_fma_f32 v68, v32, v42, -v12
	v_mul_f32_e32 v97, v20, v41
	v_fmac_f32_e32 v97, v21, v40
	v_fmac_f32_e32 v58, v100, v111
	v_mul_f32_e32 v69, v32, v43
	v_fmac_f32_e32 v69, v33, v42
	s_waitcnt lgkmcnt(0)
	; wave barrier
	s_waitcnt lgkmcnt(0)
	s_add_u32 s6, s8, 0x4330
	s_waitcnt vmcnt(3)
	v_mul_f32_e32 v12, v15, v71
	v_fma_f32 v98, v14, v70, -v12
	v_mul_f32_e32 v71, v14, v71
	s_waitcnt vmcnt(2)
	v_mul_f32_e32 v12, v45, v23
	v_fma_f32 v99, v44, v22, -v12
	v_mul_f32_e32 v12, v49, v25
	v_fmac_f32_e32 v71, v15, v70
	v_fma_f32 v70, v48, v24, -v12
	s_waitcnt vmcnt(1)
	v_mul_f32_e32 v12, v53, v27
	v_fma_f32 v108, v52, v26, -v12
	v_mul_f32_e32 v12, v65, v29
	v_fma_f32 v110, v64, v28, -v12
	v_mul_f32_e32 v100, v44, v23
	v_fmac_f32_e32 v100, v45, v22
	v_mul_f32_e32 v107, v48, v25
	s_waitcnt vmcnt(0)
	v_mul_f32_e32 v12, v3, v35
	v_fma_f32 v112, v2, v34, -v12
	v_mul_f32_e32 v123, v2, v35
	v_add_f32_e32 v2, v4, v60
	v_add_f32_e32 v14, v2, v51
	;; [unrolled: 1-line block ×3, first 2 shown]
	v_fma_f32 v15, -0.5, v2, v4
	v_sub_f32_e32 v2, v46, v54
	v_mov_b32_e32 v18, v15
	v_fmac_f32_e32 v18, 0x3f5db3d7, v2
	v_fmac_f32_e32 v15, 0xbf5db3d7, v2
	v_add_f32_e32 v2, v5, v46
	v_add_f32_e32 v19, v2, v54
	;; [unrolled: 1-line block ×3, first 2 shown]
	v_fma_f32 v20, -0.5, v2, v5
	v_sub_f32_e32 v2, v60, v51
	v_mov_b32_e32 v21, v20
	v_fmac_f32_e32 v21, 0xbf5db3d7, v2
	v_fmac_f32_e32 v20, 0x3f5db3d7, v2
	v_add_f32_e32 v2, v38, v47
	v_add_f32_e32 v22, v2, v16
	;; [unrolled: 1-line block ×3, first 2 shown]
	v_fmac_f32_e32 v38, -0.5, v2
	v_sub_f32_e32 v2, v50, v17
	v_mov_b32_e32 v5, v38
	v_fmac_f32_e32 v5, 0x3f5db3d7, v2
	v_fmac_f32_e32 v38, 0xbf5db3d7, v2
	v_add_f32_e32 v2, v39, v50
	v_add_f32_e32 v23, v2, v17
	v_add_f32_e32 v2, v50, v17
	v_fmac_f32_e32 v39, -0.5, v2
	v_sub_f32_e32 v2, v47, v16
	v_mov_b32_e32 v13, v39
	v_fmac_f32_e32 v13, 0xbf5db3d7, v2
	v_fmac_f32_e32 v39, 0x3f5db3d7, v2
	v_mul_f32_e32 v16, 0x3f5db3d7, v13
	v_mul_f32_e32 v17, -0.5, v38
	v_mul_f32_e32 v25, -0.5, v39
	v_fmac_f32_e32 v107, v49, v24
	v_fmac_f32_e32 v16, 0.5, v5
	v_fmac_f32_e32 v17, 0x3f5db3d7, v39
	v_mul_f32_e32 v24, 0xbf5db3d7, v5
	v_fmac_f32_e32 v25, 0xbf5db3d7, v38
	v_mul_f32_e32 v109, v52, v27
	v_fmac_f32_e32 v123, v3, v34
	v_add_f32_e32 v4, v18, v16
	v_add_f32_e32 v12, v15, v17
	;; [unrolled: 1-line block ×3, first 2 shown]
	v_fmac_f32_e32 v24, 0.5, v13
	v_add_f32_e32 v13, v20, v25
	v_sub_f32_e32 v16, v18, v16
	v_sub_f32_e32 v18, v15, v17
	;; [unrolled: 1-line block ×4, first 2 shown]
	v_add_f32_e32 v20, v36, v116
	v_fmac_f32_e32 v109, v53, v26
	v_add_f32_e32 v26, v20, v77
	v_add_f32_e32 v20, v116, v77
	v_mul_f32_e32 v111, v64, v29
	v_fma_f32 v27, -0.5, v20, v36
	v_fmac_f32_e32 v111, v65, v28
	v_sub_f32_e32 v20, v117, v93
	v_mov_b32_e32 v28, v27
	v_fmac_f32_e32 v28, 0x3f5db3d7, v20
	v_fmac_f32_e32 v27, 0xbf5db3d7, v20
	v_add_f32_e32 v20, v37, v117
	v_add_f32_e32 v29, v20, v93
	v_add_f32_e32 v20, v117, v93
	v_fmac_f32_e32 v37, -0.5, v20
	v_sub_f32_e32 v20, v116, v77
	v_mov_b32_e32 v31, v37
	v_fmac_f32_e32 v31, 0xbf5db3d7, v20
	v_fmac_f32_e32 v37, 0x3f5db3d7, v20
	v_add_f32_e32 v20, v114, v118
	v_add_f32_e32 v30, v20, v55
	v_add_f32_e32 v20, v118, v55
	v_fmac_f32_e32 v114, -0.5, v20
	;; [unrolled: 8-line block ×3, first 2 shown]
	v_sub_f32_e32 v20, v118, v55
	v_mov_b32_e32 v25, v115
	v_fmac_f32_e32 v115, 0x3f5db3d7, v20
	v_mul_f32_e32 v34, -0.5, v114
	v_fmac_f32_e32 v34, 0x3f5db3d7, v115
	v_add_f32_e32 v5, v21, v24
	v_sub_f32_e32 v17, v21, v24
	v_fmac_f32_e32 v25, 0xbf5db3d7, v20
	v_add_f32_e32 v20, v26, v30
	v_add_f32_e32 v24, v27, v34
	;; [unrolled: 1-line block ×3, first 2 shown]
	v_sub_f32_e32 v26, v26, v30
	v_sub_f32_e32 v30, v27, v34
	;; [unrolled: 1-line block ×3, first 2 shown]
	v_add_f32_e32 v32, v72, v106
	v_add_f32_e32 v38, v32, v79
	;; [unrolled: 1-line block ×3, first 2 shown]
	v_fma_f32 v39, -0.5, v32, v72
	v_sub_f32_e32 v32, v119, v95
	v_mov_b32_e32 v40, v39
	v_fmac_f32_e32 v40, 0x3f5db3d7, v32
	v_fmac_f32_e32 v39, 0xbf5db3d7, v32
	v_add_f32_e32 v32, v73, v119
	v_add_f32_e32 v41, v32, v95
	;; [unrolled: 1-line block ×3, first 2 shown]
	v_fmac_f32_e32 v73, -0.5, v32
	v_sub_f32_e32 v32, v106, v79
	v_mov_b32_e32 v43, v73
	v_fmac_f32_e32 v43, 0xbf5db3d7, v32
	v_fmac_f32_e32 v73, 0x3f5db3d7, v32
	v_add_f32_e32 v32, v94, v120
	v_mul_f32_e32 v35, 0xbf5db3d7, v23
	v_add_f32_e32 v42, v32, v57
	v_add_f32_e32 v32, v120, v57
	v_mul_f32_e32 v33, 0x3f5db3d7, v25
	v_fmac_f32_e32 v35, 0.5, v25
	v_fmac_f32_e32 v94, -0.5, v32
	v_fmac_f32_e32 v33, 0.5, v23
	v_add_f32_e32 v23, v31, v35
	v_sub_f32_e32 v29, v31, v35
	v_sub_f32_e32 v32, v78, v58
	v_mov_b32_e32 v35, v94
	v_fmac_f32_e32 v35, 0x3f5db3d7, v32
	v_fmac_f32_e32 v94, 0xbf5db3d7, v32
	v_add_f32_e32 v32, v105, v78
	v_mul_f32_e32 v36, -0.5, v115
	v_add_f32_e32 v44, v32, v58
	v_add_f32_e32 v32, v78, v58
	v_fmac_f32_e32 v36, 0xbf5db3d7, v114
	v_fmac_f32_e32 v105, -0.5, v32
	v_sub_f32_e32 v32, v120, v57
	v_add_f32_e32 v25, v37, v36
	v_sub_f32_e32 v31, v37, v36
	v_mov_b32_e32 v37, v105
	v_fmac_f32_e32 v105, 0x3f5db3d7, v32
	v_mul_f32_e32 v46, -0.5, v94
	v_fmac_f32_e32 v46, 0x3f5db3d7, v105
	v_add_f32_e32 v2, v14, v22
	v_sub_f32_e32 v14, v14, v22
	v_add_f32_e32 v22, v28, v33
	v_sub_f32_e32 v28, v28, v33
	v_fmac_f32_e32 v37, 0xbf5db3d7, v32
	v_add_f32_e32 v32, v38, v42
	v_add_f32_e32 v36, v39, v46
	;; [unrolled: 1-line block ×3, first 2 shown]
	v_sub_f32_e32 v38, v38, v42
	v_sub_f32_e32 v42, v39, v46
	;; [unrolled: 1-line block ×3, first 2 shown]
	v_add_f32_e32 v44, v74, v102
	v_add_f32_e32 v50, v44, v62
	;; [unrolled: 1-line block ×3, first 2 shown]
	v_fma_f32 v51, -0.5, v44, v74
	v_sub_f32_e32 v44, v113, v63
	v_mov_b32_e32 v52, v51
	v_fmac_f32_e32 v52, 0x3f5db3d7, v44
	v_fmac_f32_e32 v51, 0xbf5db3d7, v44
	v_add_f32_e32 v44, v75, v113
	v_add_f32_e32 v53, v44, v63
	;; [unrolled: 1-line block ×3, first 2 shown]
	v_fmac_f32_e32 v75, -0.5, v44
	v_sub_f32_e32 v44, v102, v62
	v_mov_b32_e32 v55, v75
	v_fmac_f32_e32 v55, 0xbf5db3d7, v44
	v_fmac_f32_e32 v75, 0x3f5db3d7, v44
	v_add_f32_e32 v44, v96, v59
	v_mul_f32_e32 v47, 0xbf5db3d7, v35
	v_add_f32_e32 v54, v44, v66
	v_add_f32_e32 v44, v59, v66
	v_mul_f32_e32 v45, 0x3f5db3d7, v37
	v_fmac_f32_e32 v47, 0.5, v37
	v_fmac_f32_e32 v96, -0.5, v44
	v_fmac_f32_e32 v45, 0.5, v35
	v_add_f32_e32 v35, v43, v47
	v_sub_f32_e32 v41, v43, v47
	v_sub_f32_e32 v44, v61, v67
	v_mov_b32_e32 v47, v96
	v_fmac_f32_e32 v47, 0x3f5db3d7, v44
	v_fmac_f32_e32 v96, 0xbf5db3d7, v44
	v_add_f32_e32 v44, v101, v61
	v_add_f32_e32 v56, v44, v67
	;; [unrolled: 1-line block ×3, first 2 shown]
	v_fmac_f32_e32 v101, -0.5, v44
	v_sub_f32_e32 v44, v59, v66
	v_mul_f32_e32 v48, -0.5, v105
	v_mov_b32_e32 v49, v101
	v_fmac_f32_e32 v101, 0x3f5db3d7, v44
	v_mul_f32_e32 v58, -0.5, v96
	v_fmac_f32_e32 v48, 0xbf5db3d7, v94
	v_fmac_f32_e32 v58, 0x3f5db3d7, v101
	v_add_f32_e32 v34, v40, v45
	v_add_f32_e32 v37, v73, v48
	v_sub_f32_e32 v40, v40, v45
	v_sub_f32_e32 v43, v73, v48
	v_fmac_f32_e32 v49, 0xbf5db3d7, v44
	v_add_f32_e32 v44, v50, v54
	v_add_f32_e32 v48, v51, v58
	v_add_f32_e32 v45, v53, v56
	v_sub_f32_e32 v50, v50, v54
	v_sub_f32_e32 v54, v51, v58
	;; [unrolled: 1-line block ×3, first 2 shown]
	v_add_f32_e32 v56, v6, v104
	v_add_f32_e32 v62, v56, v68
	;; [unrolled: 1-line block ×3, first 2 shown]
	v_fma_f32 v6, -0.5, v56, v6
	v_sub_f32_e32 v56, v122, v69
	v_mov_b32_e32 v63, v6
	v_fmac_f32_e32 v63, 0x3f5db3d7, v56
	v_fmac_f32_e32 v6, 0xbf5db3d7, v56
	v_add_f32_e32 v56, v7, v122
	v_add_f32_e32 v65, v56, v69
	;; [unrolled: 1-line block ×3, first 2 shown]
	v_fmac_f32_e32 v7, -0.5, v56
	v_sub_f32_e32 v56, v104, v68
	v_mov_b32_e32 v66, v7
	v_fmac_f32_e32 v66, 0xbf5db3d7, v56
	v_fmac_f32_e32 v7, 0x3f5db3d7, v56
	v_add_f32_e32 v56, v121, v92
	v_mul_f32_e32 v59, 0xbf5db3d7, v47
	v_add_f32_e32 v64, v56, v98
	v_add_f32_e32 v56, v92, v98
	v_mul_f32_e32 v57, 0x3f5db3d7, v49
	v_fmac_f32_e32 v59, 0.5, v49
	v_fmac_f32_e32 v121, -0.5, v56
	v_fmac_f32_e32 v57, 0.5, v47
	v_add_f32_e32 v47, v55, v59
	v_sub_f32_e32 v53, v55, v59
	v_sub_f32_e32 v56, v97, v71
	v_mov_b32_e32 v59, v121
	v_fmac_f32_e32 v59, 0x3f5db3d7, v56
	v_fmac_f32_e32 v121, 0xbf5db3d7, v56
	v_add_f32_e32 v56, v103, v97
	v_add_f32_e32 v67, v56, v71
	;; [unrolled: 1-line block ×3, first 2 shown]
	v_fmac_f32_e32 v103, -0.5, v56
	v_sub_f32_e32 v56, v92, v98
	v_mov_b32_e32 v61, v103
	v_fmac_f32_e32 v61, 0xbf5db3d7, v56
	v_fmac_f32_e32 v103, 0x3f5db3d7, v56
	v_mul_f32_e32 v68, 0x3f5db3d7, v61
	v_mul_f32_e32 v71, 0xbf5db3d7, v59
	v_fmac_f32_e32 v68, 0.5, v59
	v_fmac_f32_e32 v71, 0.5, v61
	v_mul_f32_e32 v72, -0.5, v103
	v_add_f32_e32 v46, v52, v57
	v_sub_f32_e32 v52, v52, v57
	v_add_f32_e32 v56, v62, v64
	v_add_f32_e32 v58, v63, v68
	;; [unrolled: 1-line block ×4, first 2 shown]
	v_fmac_f32_e32 v72, 0xbf5db3d7, v121
	v_sub_f32_e32 v62, v62, v64
	v_sub_f32_e32 v64, v63, v68
	;; [unrolled: 1-line block ×4, first 2 shown]
	v_add_f32_e32 v66, v0, v70
	v_add_f32_e32 v61, v7, v72
	v_sub_f32_e32 v7, v7, v72
	v_add_f32_e32 v72, v66, v110
	v_add_f32_e32 v66, v70, v110
	v_fma_f32 v0, -0.5, v66, v0
	v_mul_f32_e32 v60, -0.5, v101
	v_sub_f32_e32 v66, v107, v111
	v_mov_b32_e32 v73, v0
	v_fmac_f32_e32 v60, 0xbf5db3d7, v96
	v_fmac_f32_e32 v73, 0x3f5db3d7, v66
	v_fmac_f32_e32 v0, 0xbf5db3d7, v66
	v_add_f32_e32 v66, v1, v107
	v_add_f32_e32 v49, v75, v60
	v_sub_f32_e32 v55, v75, v60
	v_add_f32_e32 v75, v66, v111
	v_add_f32_e32 v66, v107, v111
	v_fmac_f32_e32 v1, -0.5, v66
	v_sub_f32_e32 v66, v70, v110
	v_mov_b32_e32 v76, v1
	v_fmac_f32_e32 v76, 0xbf5db3d7, v66
	v_fmac_f32_e32 v1, 0x3f5db3d7, v66
	v_add_f32_e32 v66, v99, v108
	v_mul_f32_e32 v69, -0.5, v121
	v_add_f32_e32 v74, v66, v112
	v_add_f32_e32 v66, v108, v112
	v_fmac_f32_e32 v69, 0x3f5db3d7, v103
	v_fmac_f32_e32 v99, -0.5, v66
	v_add_f32_e32 v60, v6, v69
	v_sub_f32_e32 v6, v6, v69
	v_sub_f32_e32 v66, v109, v123
	v_mov_b32_e32 v69, v99
	v_fmac_f32_e32 v69, 0x3f5db3d7, v66
	v_fmac_f32_e32 v99, 0xbf5db3d7, v66
	v_add_f32_e32 v66, v100, v109
	v_add_f32_e32 v77, v66, v123
	;; [unrolled: 1-line block ×3, first 2 shown]
	v_fmac_f32_e32 v100, -0.5, v66
	v_sub_f32_e32 v66, v108, v112
	v_mov_b32_e32 v71, v100
	v_fmac_f32_e32 v71, 0xbf5db3d7, v66
	v_fmac_f32_e32 v100, 0x3f5db3d7, v66
	v_mul_f32_e32 v78, 0x3f5db3d7, v71
	v_mul_f32_e32 v79, -0.5, v99
	v_mul_f32_e32 v92, 0xbf5db3d7, v69
	v_mul_f32_e32 v93, -0.5, v100
	v_fmac_f32_e32 v78, 0.5, v69
	v_fmac_f32_e32 v79, 0x3f5db3d7, v100
	v_fmac_f32_e32 v92, 0.5, v71
	v_fmac_f32_e32 v93, 0xbf5db3d7, v99
	v_add_f32_e32 v66, v72, v74
	v_add_f32_e32 v68, v73, v78
	;; [unrolled: 1-line block ×6, first 2 shown]
	v_sub_f32_e32 v72, v72, v74
	v_sub_f32_e32 v74, v73, v78
	;; [unrolled: 1-line block ×6, first 2 shown]
	ds_write_b64 v89, v[2:3]
	ds_write_b64 v89, v[4:5] offset:2880
	ds_write_b64 v89, v[12:13] offset:5760
	ds_write_b64 v89, v[14:15] offset:8640
	ds_write_b64 v89, v[16:17] offset:11520
	ds_write_b64 v89, v[18:19] offset:14400
	ds_write_b64 v11, v[20:21]
	ds_write_b64 v11, v[22:23] offset:2880
	ds_write_b64 v11, v[24:25] offset:5760
	ds_write_b64 v11, v[26:27] offset:8640
	ds_write_b64 v11, v[28:29] offset:11520
	ds_write_b64 v11, v[30:31] offset:14400
	;; [unrolled: 6-line block ×4, first 2 shown]
	ds_write2_b64 v91, v[56:57], v[66:67] offset0:112 offset1:172
	ds_write2_b64 v90, v[58:59], v[68:69] offset0:88 offset1:148
	;; [unrolled: 1-line block ×5, first 2 shown]
	v_add_u32_e32 v2, 0x3c00, v89
	ds_write2_b64 v2, v[6:7], v[0:1] offset0:120 offset1:180
	s_waitcnt lgkmcnt(0)
	; wave barrier
	s_waitcnt lgkmcnt(0)
	ds_read_b64 v[4:5], v89
	v_lshlrev_b32_e32 v0, 3, v80
	s_addc_u32 s7, s9, 0
	v_sub_u32_e32 v6, 0, v0
	v_cmp_ne_u32_e32 vcc, 0, v80
                                        ; implicit-def: $vgpr3
                                        ; implicit-def: $vgpr7
                                        ; implicit-def: $vgpr0_vgpr1
	s_and_saveexec_b64 s[4:5], vcc
	s_xor_b64 s[4:5], exec, s[4:5]
	s_cbranch_execz .LBB0_17
; %bb.16:
	v_mov_b32_e32 v81, v8
	v_lshlrev_b64 v[0:1], 3, v[80:81]
	v_mov_b32_e32 v2, s7
	v_add_co_u32_e32 v0, vcc, s6, v0
	v_addc_co_u32_e32 v1, vcc, v2, v1, vcc
	global_load_dwordx2 v[0:1], v[0:1], off
	ds_read_b64 v[2:3], v6 offset:17280
	s_waitcnt lgkmcnt(0)
	v_add_f32_e32 v8, v2, v4
	v_sub_f32_e32 v2, v4, v2
	v_add_f32_e32 v7, v3, v5
	v_sub_f32_e32 v3, v5, v3
	v_mul_f32_e32 v2, 0.5, v2
	v_mul_f32_e32 v4, 0.5, v7
	;; [unrolled: 1-line block ×3, first 2 shown]
	s_waitcnt vmcnt(0)
	v_mul_f32_e32 v5, v1, v2
	v_fma_f32 v7, v4, v1, v3
	v_fma_f32 v1, v4, v1, -v3
	v_fma_f32 v12, 0.5, v8, v5
	v_fma_f32 v5, v8, 0.5, -v5
	v_fma_f32 v7, -v0, v2, v7
	v_fma_f32 v3, -v0, v2, v1
	v_fmac_f32_e32 v12, v0, v4
	v_fma_f32 v2, -v0, v4, v5
	v_mov_b32_e32 v0, v80
	ds_write_b32 v89, v12
	v_mov_b32_e32 v1, v81
                                        ; implicit-def: $vgpr4_vgpr5
.LBB0_17:
	s_andn2_saveexec_b64 s[4:5], s[4:5]
	s_cbranch_execz .LBB0_19
; %bb.18:
	v_mov_b32_e32 v7, 0
	ds_read_b32 v3, v7 offset:8644
	v_mov_b32_e32 v0, 0
	s_waitcnt lgkmcnt(1)
	v_add_f32_e32 v8, v4, v5
	v_sub_f32_e32 v2, v4, v5
	v_mov_b32_e32 v1, 0
	s_waitcnt lgkmcnt(0)
	v_xor_b32_e32 v3, 0x80000000, v3
	ds_write_b32 v7, v3 offset:8644
	v_mov_b32_e32 v3, v7
	ds_write_b32 v89, v8
.LBB0_19:
	s_or_b64 exec, exec, s[4:5]
	v_mov_b32_e32 v83, 0
	s_waitcnt lgkmcnt(0)
	v_lshlrev_b64 v[4:5], 3, v[82:83]
	v_mov_b32_e32 v8, s7
	v_add_co_u32_e32 v4, vcc, s6, v4
	v_addc_co_u32_e32 v5, vcc, v8, v5, vcc
	global_load_dwordx2 v[4:5], v[4:5], off
	v_mov_b32_e32 v88, v83
	v_lshlrev_b64 v[12:13], 3, v[87:88]
	v_mov_b32_e32 v87, v83
	v_add_co_u32_e32 v12, vcc, s6, v12
	v_addc_co_u32_e32 v13, vcc, v8, v13, vcc
	global_load_dwordx2 v[12:13], v[12:13], off
	v_lshlrev_b64 v[14:15], 3, v[86:87]
	v_lshlrev_b64 v[0:1], 3, v[0:1]
	v_add_co_u32_e32 v14, vcc, s6, v14
	v_addc_co_u32_e32 v15, vcc, v8, v15, vcc
	global_load_dwordx2 v[14:15], v[14:15], off
	v_mov_b32_e32 v17, s7
	v_add_co_u32_e32 v16, vcc, s6, v0
	ds_write_b32 v89, v7 offset:4
	ds_write_b64 v6, v[2:3] offset:17280
	v_addc_co_u32_e32 v17, vcc, v17, v1, vcc
	ds_read_b64 v[2:3], v11
	ds_read_b64 v[7:8], v6 offset:16800
	global_load_dwordx2 v[18:19], v[16:17], off offset:1920
	s_movk_i32 s4, 0x1000
	v_or_b32_e32 v82, 0x3c0, v80
	s_waitcnt lgkmcnt(0)
	v_add_f32_e32 v20, v2, v7
	v_sub_f32_e32 v2, v2, v7
	v_add_f32_e32 v21, v3, v8
	v_sub_f32_e32 v3, v3, v8
	v_mul_f32_e32 v8, 0.5, v2
	v_mul_f32_e32 v7, 0.5, v21
	;; [unrolled: 1-line block ×3, first 2 shown]
	s_waitcnt vmcnt(3)
	v_mul_f32_e32 v21, v5, v8
	v_fma_f32 v3, v7, v5, v2
	v_fma_f32 v5, v7, v5, -v2
	v_fma_f32 v2, 0.5, v20, v21
	v_fma_f32 v3, -v4, v8, v3
	v_fma_f32 v20, v20, 0.5, -v21
	v_fmac_f32_e32 v2, v4, v7
	v_fma_f32 v5, -v4, v8, v5
	v_fma_f32 v4, -v4, v7, v20
	ds_write_b64 v11, v[2:3]
	ds_write_b64 v6, v[4:5] offset:16800
	ds_read_b64 v[2:3], v10
	ds_read_b64 v[4:5], v6 offset:16320
	global_load_dwordx2 v[7:8], v[16:17], off offset:2400
	s_waitcnt lgkmcnt(0)
	v_add_f32_e32 v11, v2, v4
	v_sub_f32_e32 v2, v2, v4
	v_add_f32_e32 v20, v3, v5
	v_sub_f32_e32 v3, v3, v5
	v_mul_f32_e32 v5, 0.5, v2
	v_mul_f32_e32 v4, 0.5, v20
	;; [unrolled: 1-line block ×3, first 2 shown]
	s_waitcnt vmcnt(3)
	v_mul_f32_e32 v20, v13, v5
	v_fma_f32 v3, v4, v13, v2
	v_fma_f32 v13, v4, v13, -v2
	v_fma_f32 v2, 0.5, v11, v20
	v_fma_f32 v3, -v12, v5, v3
	v_fma_f32 v11, v11, 0.5, -v20
	v_fmac_f32_e32 v2, v12, v4
	v_fma_f32 v5, -v12, v5, v13
	v_fma_f32 v4, -v12, v4, v11
	ds_write_b64 v10, v[2:3]
	ds_write_b64 v6, v[4:5] offset:16320
	ds_read_b64 v[2:3], v9
	ds_read_b64 v[4:5], v6 offset:15840
	s_waitcnt lgkmcnt(0)
	v_add_f32_e32 v10, v2, v4
	v_add_f32_e32 v11, v3, v5
	v_sub_f32_e32 v2, v2, v4
	v_sub_f32_e32 v3, v3, v5
	v_mul_f32_e32 v12, 0.5, v11
	v_mul_f32_e32 v11, 0.5, v2
	;; [unrolled: 1-line block ×3, first 2 shown]
	global_load_dwordx2 v[2:3], v[16:17], off offset:2880
	s_waitcnt vmcnt(3)
	v_mul_f32_e32 v13, v15, v11
	v_fma_f32 v5, v12, v15, v4
	v_fma_f32 v15, v12, v15, -v4
	v_fma_f32 v4, 0.5, v10, v13
	v_fma_f32 v5, -v14, v11, v5
	v_fma_f32 v10, v10, 0.5, -v13
	v_fmac_f32_e32 v4, v14, v12
	v_fma_f32 v11, -v14, v11, v15
	v_fma_f32 v10, -v14, v12, v10
	ds_write_b64 v9, v[4:5]
	ds_write_b64 v6, v[10:11] offset:15840
	ds_read_b64 v[4:5], v89 offset:1920
	ds_read_b64 v[9:10], v6 offset:15360
	s_waitcnt lgkmcnt(0)
	v_add_f32_e32 v11, v4, v9
	v_add_f32_e32 v12, v5, v10
	v_sub_f32_e32 v4, v4, v9
	v_sub_f32_e32 v5, v5, v10
	v_mul_f32_e32 v13, 0.5, v12
	v_mul_f32_e32 v12, 0.5, v4
	;; [unrolled: 1-line block ×3, first 2 shown]
	global_load_dwordx2 v[4:5], v[16:17], off offset:3360
	s_waitcnt vmcnt(3)
	v_mul_f32_e32 v14, v19, v12
	v_fma_f32 v10, v13, v19, v9
	v_fma_f32 v15, v13, v19, -v9
	v_fma_f32 v9, 0.5, v11, v14
	v_fma_f32 v10, -v18, v12, v10
	v_fma_f32 v11, v11, 0.5, -v14
	v_fmac_f32_e32 v9, v18, v13
	v_fma_f32 v12, -v18, v12, v15
	v_fma_f32 v11, -v18, v13, v11
	ds_write_b64 v89, v[9:10] offset:1920
	ds_write_b64 v6, v[11:12] offset:15360
	ds_read_b64 v[9:10], v89 offset:2400
	ds_read_b64 v[11:12], v6 offset:14880
	global_load_dwordx2 v[13:14], v[16:17], off offset:3840
	s_waitcnt lgkmcnt(0)
	v_add_f32_e32 v15, v9, v11
	v_sub_f32_e32 v9, v9, v11
	v_add_f32_e32 v18, v10, v12
	v_sub_f32_e32 v10, v10, v12
	v_mul_f32_e32 v12, 0.5, v9
	v_mul_f32_e32 v11, 0.5, v18
	;; [unrolled: 1-line block ×3, first 2 shown]
	s_waitcnt vmcnt(3)
	v_mul_f32_e32 v19, v8, v12
	v_fma_f32 v10, v11, v8, v18
	v_fma_f32 v9, 0.5, v15, v19
	v_fma_f32 v10, -v7, v12, v10
	v_fmac_f32_e32 v9, v7, v11
	ds_write_b64 v89, v[9:10] offset:2400
	v_fma_f32 v9, v15, 0.5, -v19
	v_fma_f32 v8, v11, v8, -v18
	v_fma_f32 v9, -v7, v11, v9
	v_fma_f32 v10, -v7, v12, v8
	ds_write_b64 v6, v[9:10] offset:14880
	ds_read_b64 v[7:8], v89 offset:2880
	ds_read_b64 v[9:10], v6 offset:14400
	s_waitcnt lgkmcnt(0)
	v_add_f32_e32 v11, v8, v10
	v_mul_f32_e32 v19, 0.5, v11
	v_add_co_u32_e32 v11, vcc, s4, v16
	v_addc_co_u32_e32 v12, vcc, 0, v17, vcc
	global_load_dwordx2 v[15:16], v[11:12], off offset:224
	v_add_f32_e32 v18, v7, v9
	v_sub_f32_e32 v7, v7, v9
	v_sub_f32_e32 v8, v8, v10
	v_mul_f32_e32 v9, 0.5, v7
	v_mul_f32_e32 v10, 0.5, v8
	s_waitcnt vmcnt(3)
	v_mul_f32_e32 v17, v3, v9
	v_fma_f32 v7, 0.5, v18, v17
	v_fma_f32 v8, v19, v3, v10
	v_fmac_f32_e32 v7, v2, v19
	v_fma_f32 v8, -v2, v9, v8
	ds_write_b64 v89, v[7:8] offset:2880
	v_fma_f32 v7, v18, 0.5, -v17
	v_fma_f32 v3, v19, v3, -v10
	v_fma_f32 v7, -v2, v19, v7
	v_fma_f32 v8, -v2, v9, v3
	ds_write_b64 v6, v[7:8] offset:14400
	ds_read_b64 v[2:3], v89 offset:3360
	ds_read_b64 v[7:8], v6 offset:13920
	global_load_dwordx2 v[9:10], v[11:12], off offset:704
	s_waitcnt lgkmcnt(0)
	v_add_f32_e32 v17, v2, v7
	v_sub_f32_e32 v2, v2, v7
	v_add_f32_e32 v18, v3, v8
	v_sub_f32_e32 v3, v3, v8
	v_mul_f32_e32 v7, 0.5, v2
	v_mul_f32_e32 v18, 0.5, v18
	v_mul_f32_e32 v8, 0.5, v3
	s_waitcnt vmcnt(3)
	v_mul_f32_e32 v19, v5, v7
	v_fma_f32 v2, 0.5, v17, v19
	v_fma_f32 v3, v18, v5, v8
	v_fmac_f32_e32 v2, v4, v18
	v_fma_f32 v3, -v4, v7, v3
	ds_write_b64 v89, v[2:3] offset:3360
	v_fma_f32 v2, v17, 0.5, -v19
	v_fma_f32 v3, v18, v5, -v8
	v_fma_f32 v2, -v4, v18, v2
	v_fma_f32 v3, -v4, v7, v3
	ds_write_b64 v6, v[2:3] offset:13920
	ds_read_b64 v[2:3], v89 offset:3840
	ds_read_b64 v[4:5], v6 offset:13440
	global_load_dwordx2 v[7:8], v[11:12], off offset:1184
	s_waitcnt lgkmcnt(0)
	v_add_f32_e32 v17, v2, v4
	v_sub_f32_e32 v2, v2, v4
	v_add_f32_e32 v18, v3, v5
	v_sub_f32_e32 v3, v3, v5
	v_mul_f32_e32 v4, 0.5, v2
	;; [unrolled: 23-line block ×3, first 2 shown]
	v_mul_f32_e32 v18, 0.5, v18
	v_mul_f32_e32 v5, 0.5, v3
	s_waitcnt vmcnt(3)
	v_mul_f32_e32 v19, v16, v4
	v_fma_f32 v2, 0.5, v17, v19
	v_fma_f32 v3, v18, v16, v5
	v_fmac_f32_e32 v2, v15, v18
	v_fma_f32 v3, -v15, v4, v3
	ds_write_b64 v89, v[2:3] offset:4320
	v_fma_f32 v2, v17, 0.5, -v19
	v_fma_f32 v3, v18, v16, -v5
	v_fma_f32 v2, -v15, v18, v2
	v_fma_f32 v3, -v15, v4, v3
	ds_write_b64 v6, v[2:3] offset:12960
	ds_read_b64 v[2:3], v89 offset:4800
	ds_read_b64 v[4:5], v6 offset:12480
	s_waitcnt lgkmcnt(0)
	v_add_f32_e32 v15, v2, v4
	v_add_f32_e32 v16, v3, v5
	v_sub_f32_e32 v2, v2, v4
	v_sub_f32_e32 v3, v3, v5
	global_load_dwordx2 v[4:5], v[11:12], off offset:2144
	v_mul_f32_e32 v17, 0.5, v2
	v_mul_f32_e32 v16, 0.5, v16
	v_mul_f32_e32 v18, 0.5, v3
	s_waitcnt vmcnt(3)
	v_mul_f32_e32 v19, v10, v17
	v_fma_f32 v2, 0.5, v15, v19
	v_fma_f32 v3, v16, v10, v18
	v_fmac_f32_e32 v2, v9, v16
	v_fma_f32 v3, -v9, v17, v3
	ds_write_b64 v89, v[2:3] offset:4800
	v_fma_f32 v2, v15, 0.5, -v19
	v_fma_f32 v3, v16, v10, -v18
	v_fma_f32 v2, -v9, v16, v2
	v_fma_f32 v3, -v9, v17, v3
	ds_write_b64 v6, v[2:3] offset:12480
	ds_read_b64 v[2:3], v89 offset:5280
	ds_read_b64 v[9:10], v6 offset:12000
	s_waitcnt lgkmcnt(0)
	v_add_f32_e32 v15, v2, v9
	v_add_f32_e32 v16, v3, v10
	v_sub_f32_e32 v2, v2, v9
	v_sub_f32_e32 v3, v3, v10
	global_load_dwordx2 v[9:10], v[11:12], off offset:2624
	v_mul_f32_e32 v17, 0.5, v2
	;; [unrolled: 23-line block ×3, first 2 shown]
	v_mul_f32_e32 v16, 0.5, v16
	v_mul_f32_e32 v18, 0.5, v3
	s_waitcnt vmcnt(3)
	v_mul_f32_e32 v19, v14, v17
	v_fma_f32 v2, 0.5, v15, v19
	v_fma_f32 v3, v16, v14, v18
	v_fmac_f32_e32 v2, v13, v16
	v_fma_f32 v3, -v13, v17, v3
	ds_write_b64 v89, v[2:3] offset:5760
	v_fma_f32 v2, v15, 0.5, -v19
	v_fma_f32 v3, v16, v14, -v18
	v_fma_f32 v2, -v13, v16, v2
	v_fma_f32 v3, -v13, v17, v3
	ds_write_b64 v6, v[2:3] offset:11520
	v_lshlrev_b64 v[2:3], 3, v[82:83]
	v_mov_b32_e32 v18, s7
	v_add_co_u32_e32 v17, vcc, s6, v2
	v_addc_co_u32_e32 v18, vcc, v18, v3, vcc
	ds_read_b64 v[13:14], v89 offset:6240
	ds_read_b64 v[15:16], v6 offset:11040
	global_load_dwordx2 v[17:18], v[17:18], off
	s_waitcnt lgkmcnt(0)
	v_add_f32_e32 v19, v13, v15
	global_load_dwordx2 v[11:12], v[11:12], off offset:4064
	v_sub_f32_e32 v13, v13, v15
	v_add_f32_e32 v20, v14, v16
	v_sub_f32_e32 v14, v14, v16
	v_mul_f32_e32 v15, 0.5, v13
	v_mul_f32_e32 v20, 0.5, v20
	v_mul_f32_e32 v16, 0.5, v14
	s_waitcnt vmcnt(4)
	v_mul_f32_e32 v21, v5, v15
	v_fma_f32 v13, 0.5, v19, v21
	v_fma_f32 v14, v20, v5, v16
	v_fmac_f32_e32 v13, v4, v20
	v_fma_f32 v14, -v4, v15, v14
	ds_write_b64 v89, v[13:14] offset:6240
	v_fma_f32 v13, v19, 0.5, -v21
	v_fma_f32 v5, v20, v5, -v16
	v_fma_f32 v13, -v4, v20, v13
	v_fma_f32 v14, -v4, v15, v5
	ds_write_b64 v6, v[13:14] offset:11040
	ds_read_b64 v[4:5], v89 offset:6720
	ds_read_b64 v[13:14], v6 offset:10560
	s_waitcnt lgkmcnt(0)
	v_add_f32_e32 v15, v4, v13
	v_sub_f32_e32 v4, v4, v13
	v_add_f32_e32 v16, v5, v14
	v_sub_f32_e32 v5, v5, v14
	v_mul_f32_e32 v13, 0.5, v4
	v_mul_f32_e32 v16, 0.5, v16
	v_mul_f32_e32 v14, 0.5, v5
	s_waitcnt vmcnt(3)
	v_mul_f32_e32 v19, v10, v13
	v_fma_f32 v4, 0.5, v15, v19
	v_fma_f32 v5, v16, v10, v14
	v_fmac_f32_e32 v4, v9, v16
	v_fma_f32 v5, -v9, v13, v5
	ds_write_b64 v89, v[4:5] offset:6720
	v_fma_f32 v4, v15, 0.5, -v19
	v_fma_f32 v5, v16, v10, -v14
	v_fma_f32 v4, -v9, v16, v4
	v_fma_f32 v5, -v9, v13, v5
	ds_write_b64 v6, v[4:5] offset:10560
	ds_read_b64 v[4:5], v89 offset:7200
	ds_read_b64 v[9:10], v6 offset:10080
	s_waitcnt lgkmcnt(0)
	v_add_f32_e32 v13, v4, v9
	;; [unrolled: 22-line block ×4, first 2 shown]
	v_sub_f32_e32 v4, v4, v7
	v_add_f32_e32 v10, v5, v8
	v_sub_f32_e32 v5, v5, v8
	v_mul_f32_e32 v7, 0.5, v4
	v_mul_f32_e32 v10, 0.5, v10
	;; [unrolled: 1-line block ×3, first 2 shown]
	s_waitcnt vmcnt(0)
	v_mul_f32_e32 v13, v12, v7
	v_fma_f32 v4, 0.5, v9, v13
	v_fma_f32 v5, v10, v12, v8
	v_fmac_f32_e32 v4, v11, v10
	v_fma_f32 v5, -v11, v7, v5
	ds_write_b64 v89, v[4:5] offset:8160
	v_fma_f32 v4, v9, 0.5, -v13
	v_fma_f32 v5, v10, v12, -v8
	v_fma_f32 v4, -v11, v10, v4
	v_fma_f32 v5, -v11, v7, v5
	ds_write_b64 v6, v[4:5] offset:9120
	s_waitcnt lgkmcnt(0)
	; wave barrier
	s_waitcnt lgkmcnt(0)
	s_and_saveexec_b64 s[6:7], s[0:1]
	s_cbranch_execz .LBB0_22
; %bb.20:
	ds_read2_b64 v[6:9], v89 offset1:60
	v_mov_b32_e32 v4, s3
	v_add_co_u32_e32 v5, vcc, s2, v84
	v_addc_co_u32_e32 v4, vcc, v4, v85, vcc
	ds_read2_b64 v[10:13], v89 offset0:120 offset1:180
	v_add_co_u32_e32 v18, vcc, v5, v0
	v_addc_co_u32_e32 v19, vcc, v4, v1, vcc
	s_waitcnt lgkmcnt(1)
	global_store_dwordx2 v[18:19], v[6:7], off
	global_store_dwordx2 v[18:19], v[8:9], off offset:480
	s_waitcnt lgkmcnt(0)
	global_store_dwordx2 v[18:19], v[10:11], off offset:960
	global_store_dwordx2 v[18:19], v[12:13], off offset:1440
	v_add_u32_e32 v0, 0x400, v89
	ds_read2_b64 v[6:9], v0 offset0:112 offset1:172
	v_add_u32_e32 v0, 0x800, v89
	ds_read2_b64 v[10:13], v0 offset0:104 offset1:164
	v_add_u32_e32 v0, 0xc00, v89
	ds_read2_b64 v[14:17], v0 offset0:96 offset1:156
	s_waitcnt lgkmcnt(2)
	global_store_dwordx2 v[18:19], v[6:7], off offset:1920
	global_store_dwordx2 v[18:19], v[8:9], off offset:2400
	s_waitcnt lgkmcnt(1)
	global_store_dwordx2 v[18:19], v[10:11], off offset:2880
	global_store_dwordx2 v[18:19], v[12:13], off offset:3360
	s_waitcnt lgkmcnt(0)
	global_store_dwordx2 v[18:19], v[14:15], off offset:3840
	v_add_u32_e32 v6, 0x1000, v89
	ds_read2_b64 v[6:9], v6 offset0:88 offset1:148
	v_add_u32_e32 v10, 0x1400, v89
	v_add_co_u32_e32 v0, vcc, s4, v18
	ds_read2_b64 v[10:13], v10 offset0:80 offset1:140
	v_addc_co_u32_e32 v1, vcc, 0, v19, vcc
	v_add_u32_e32 v20, 0x1800, v89
	global_store_dwordx2 v[0:1], v[16:17], off offset:224
	ds_read2_b64 v[14:17], v20 offset0:72 offset1:132
	s_waitcnt lgkmcnt(2)
	global_store_dwordx2 v[0:1], v[6:7], off offset:704
	global_store_dwordx2 v[0:1], v[8:9], off offset:1184
	s_waitcnt lgkmcnt(1)
	global_store_dwordx2 v[0:1], v[10:11], off offset:1664
	global_store_dwordx2 v[0:1], v[12:13], off offset:2144
	;; [unrolled: 3-line block ×3, first 2 shown]
	ds_read2_b64 v[6:9], v20 offset0:192 offset1:252
	v_add_co_u32_e32 v2, vcc, v5, v2
	v_addc_co_u32_e32 v3, vcc, v4, v3, vcc
	s_waitcnt lgkmcnt(0)
	global_store_dwordx2 v[2:3], v[6:7], off
	global_store_dwordx2 v[0:1], v[8:9], off offset:4064
	v_add_u32_e32 v6, 0x2000, v89
	ds_read2_b64 v[0:3], v6 offset0:56 offset1:116
	s_movk_i32 s0, 0x2000
	v_add_co_u32_e32 v14, vcc, s0, v18
	v_addc_co_u32_e32 v15, vcc, 0, v19, vcc
	ds_read2_b64 v[6:9], v6 offset0:176 offset1:236
	s_waitcnt lgkmcnt(1)
	global_store_dwordx2 v[14:15], v[0:1], off offset:448
	v_add_u32_e32 v0, 0x2800, v89
	ds_read2_b64 v[10:13], v0 offset0:40 offset1:100
	global_store_dwordx2 v[14:15], v[2:3], off offset:928
	ds_read2_b64 v[0:3], v0 offset0:160 offset1:220
	s_waitcnt lgkmcnt(2)
	global_store_dwordx2 v[14:15], v[6:7], off offset:1408
	global_store_dwordx2 v[14:15], v[8:9], off offset:1888
	s_waitcnt lgkmcnt(1)
	global_store_dwordx2 v[14:15], v[10:11], off offset:2368
	global_store_dwordx2 v[14:15], v[12:13], off offset:2848
	s_waitcnt lgkmcnt(0)
	global_store_dwordx2 v[14:15], v[0:1], off offset:3328
	global_store_dwordx2 v[14:15], v[2:3], off offset:3808
	v_add_u32_e32 v6, 0x3000, v89
	ds_read2_b64 v[0:3], v6 offset0:24 offset1:84
	s_movk_i32 s0, 0x3000
	ds_read2_b64 v[6:9], v6 offset0:144 offset1:204
	v_add_co_u32_e32 v14, vcc, s0, v18
	v_add_u32_e32 v16, 0x3800, v89
	v_addc_co_u32_e32 v15, vcc, 0, v19, vcc
	ds_read2_b64 v[10:13], v16 offset0:8 offset1:68
	s_waitcnt lgkmcnt(2)
	global_store_dwordx2 v[14:15], v[0:1], off offset:192
	global_store_dwordx2 v[14:15], v[2:3], off offset:672
	s_waitcnt lgkmcnt(1)
	global_store_dwordx2 v[14:15], v[6:7], off offset:1152
	global_store_dwordx2 v[14:15], v[8:9], off offset:1632
	;; [unrolled: 3-line block ×3, first 2 shown]
	v_or_b32_e32 v82, 0x780, v80
	ds_read2_b64 v[0:3], v16 offset0:128 offset1:188
	v_lshlrev_b64 v[10:11], 3, v[82:83]
	v_add_u32_e32 v6, 0x3c00, v89
	ds_read2_b64 v[6:9], v6 offset0:120 offset1:180
	v_add_co_u32_e32 v10, vcc, v5, v10
	v_addc_co_u32_e32 v11, vcc, v4, v11, vcc
	s_waitcnt lgkmcnt(1)
	global_store_dwordx2 v[10:11], v[0:1], off
	global_store_dwordx2 v[14:15], v[2:3], off offset:3552
	s_waitcnt lgkmcnt(0)
	global_store_dwordx2 v[14:15], v[6:7], off offset:4032
	v_add_co_u32_e32 v0, vcc, 0x4000, v18
	v_addc_co_u32_e32 v1, vcc, 0, v19, vcc
	v_cmp_eq_u32_e32 vcc, 59, v80
	global_store_dwordx2 v[0:1], v[8:9], off offset:416
	s_and_b64 exec, exec, vcc
	s_cbranch_execz .LBB0_22
; %bb.21:
	v_mov_b32_e32 v0, 0
	ds_read_b64 v[0:1], v0 offset:17280
	v_add_co_u32_e32 v2, vcc, 0x4000, v5
	v_addc_co_u32_e32 v3, vcc, 0, v4, vcc
	s_waitcnt lgkmcnt(0)
	global_store_dwordx2 v[2:3], v[0:1], off offset:896
.LBB0_22:
	s_endpgm
	.section	.rodata,"a",@progbits
	.p2align	6, 0x0
	.amdhsa_kernel fft_rtc_fwd_len2160_factors_10_6_6_6_wgs_60_tpt_60_halfLds_sp_ip_CI_unitstride_sbrr_R2C_dirReg
		.amdhsa_group_segment_fixed_size 0
		.amdhsa_private_segment_fixed_size 0
		.amdhsa_kernarg_size 88
		.amdhsa_user_sgpr_count 6
		.amdhsa_user_sgpr_private_segment_buffer 1
		.amdhsa_user_sgpr_dispatch_ptr 0
		.amdhsa_user_sgpr_queue_ptr 0
		.amdhsa_user_sgpr_kernarg_segment_ptr 1
		.amdhsa_user_sgpr_dispatch_id 0
		.amdhsa_user_sgpr_flat_scratch_init 0
		.amdhsa_user_sgpr_private_segment_size 0
		.amdhsa_uses_dynamic_stack 0
		.amdhsa_system_sgpr_private_segment_wavefront_offset 0
		.amdhsa_system_sgpr_workgroup_id_x 1
		.amdhsa_system_sgpr_workgroup_id_y 0
		.amdhsa_system_sgpr_workgroup_id_z 0
		.amdhsa_system_sgpr_workgroup_info 0
		.amdhsa_system_vgpr_workitem_id 0
		.amdhsa_next_free_vgpr 131
		.amdhsa_next_free_sgpr 22
		.amdhsa_reserve_vcc 1
		.amdhsa_reserve_flat_scratch 0
		.amdhsa_float_round_mode_32 0
		.amdhsa_float_round_mode_16_64 0
		.amdhsa_float_denorm_mode_32 3
		.amdhsa_float_denorm_mode_16_64 3
		.amdhsa_dx10_clamp 1
		.amdhsa_ieee_mode 1
		.amdhsa_fp16_overflow 0
		.amdhsa_exception_fp_ieee_invalid_op 0
		.amdhsa_exception_fp_denorm_src 0
		.amdhsa_exception_fp_ieee_div_zero 0
		.amdhsa_exception_fp_ieee_overflow 0
		.amdhsa_exception_fp_ieee_underflow 0
		.amdhsa_exception_fp_ieee_inexact 0
		.amdhsa_exception_int_div_zero 0
	.end_amdhsa_kernel
	.text
.Lfunc_end0:
	.size	fft_rtc_fwd_len2160_factors_10_6_6_6_wgs_60_tpt_60_halfLds_sp_ip_CI_unitstride_sbrr_R2C_dirReg, .Lfunc_end0-fft_rtc_fwd_len2160_factors_10_6_6_6_wgs_60_tpt_60_halfLds_sp_ip_CI_unitstride_sbrr_R2C_dirReg
                                        ; -- End function
	.section	.AMDGPU.csdata,"",@progbits
; Kernel info:
; codeLenInByte = 18580
; NumSgprs: 26
; NumVgprs: 131
; ScratchSize: 0
; MemoryBound: 0
; FloatMode: 240
; IeeeMode: 1
; LDSByteSize: 0 bytes/workgroup (compile time only)
; SGPRBlocks: 3
; VGPRBlocks: 32
; NumSGPRsForWavesPerEU: 26
; NumVGPRsForWavesPerEU: 131
; Occupancy: 1
; WaveLimiterHint : 1
; COMPUTE_PGM_RSRC2:SCRATCH_EN: 0
; COMPUTE_PGM_RSRC2:USER_SGPR: 6
; COMPUTE_PGM_RSRC2:TRAP_HANDLER: 0
; COMPUTE_PGM_RSRC2:TGID_X_EN: 1
; COMPUTE_PGM_RSRC2:TGID_Y_EN: 0
; COMPUTE_PGM_RSRC2:TGID_Z_EN: 0
; COMPUTE_PGM_RSRC2:TIDIG_COMP_CNT: 0
	.type	__hip_cuid_6e34c521963d5ee,@object ; @__hip_cuid_6e34c521963d5ee
	.section	.bss,"aw",@nobits
	.globl	__hip_cuid_6e34c521963d5ee
__hip_cuid_6e34c521963d5ee:
	.byte	0                               ; 0x0
	.size	__hip_cuid_6e34c521963d5ee, 1

	.ident	"AMD clang version 19.0.0git (https://github.com/RadeonOpenCompute/llvm-project roc-6.4.0 25133 c7fe45cf4b819c5991fe208aaa96edf142730f1d)"
	.section	".note.GNU-stack","",@progbits
	.addrsig
	.addrsig_sym __hip_cuid_6e34c521963d5ee
	.amdgpu_metadata
---
amdhsa.kernels:
  - .args:
      - .actual_access:  read_only
        .address_space:  global
        .offset:         0
        .size:           8
        .value_kind:     global_buffer
      - .offset:         8
        .size:           8
        .value_kind:     by_value
      - .actual_access:  read_only
        .address_space:  global
        .offset:         16
        .size:           8
        .value_kind:     global_buffer
      - .actual_access:  read_only
        .address_space:  global
        .offset:         24
        .size:           8
        .value_kind:     global_buffer
      - .offset:         32
        .size:           8
        .value_kind:     by_value
      - .actual_access:  read_only
        .address_space:  global
        .offset:         40
        .size:           8
        .value_kind:     global_buffer
      - .actual_access:  read_only
        .address_space:  global
        .offset:         48
        .size:           8
        .value_kind:     global_buffer
      - .offset:         56
        .size:           4
        .value_kind:     by_value
      - .actual_access:  read_only
        .address_space:  global
        .offset:         64
        .size:           8
        .value_kind:     global_buffer
      - .actual_access:  read_only
        .address_space:  global
        .offset:         72
        .size:           8
        .value_kind:     global_buffer
      - .address_space:  global
        .offset:         80
        .size:           8
        .value_kind:     global_buffer
    .group_segment_fixed_size: 0
    .kernarg_segment_align: 8
    .kernarg_segment_size: 88
    .language:       OpenCL C
    .language_version:
      - 2
      - 0
    .max_flat_workgroup_size: 60
    .name:           fft_rtc_fwd_len2160_factors_10_6_6_6_wgs_60_tpt_60_halfLds_sp_ip_CI_unitstride_sbrr_R2C_dirReg
    .private_segment_fixed_size: 0
    .sgpr_count:     26
    .sgpr_spill_count: 0
    .symbol:         fft_rtc_fwd_len2160_factors_10_6_6_6_wgs_60_tpt_60_halfLds_sp_ip_CI_unitstride_sbrr_R2C_dirReg.kd
    .uniform_work_group_size: 1
    .uses_dynamic_stack: false
    .vgpr_count:     131
    .vgpr_spill_count: 0
    .wavefront_size: 64
amdhsa.target:   amdgcn-amd-amdhsa--gfx906
amdhsa.version:
  - 1
  - 2
...

	.end_amdgpu_metadata
